;; amdgpu-corpus repo=ROCm/aiter kind=harvested arch=n/a opt=n/a

/root/src/amdgpu-assembly/repos/ROCm__aiter/hsa/gfx942/fmoe_2stages/fmoe_stage1_bf16_pertokenFp8_g1u1_112x128_pf3.co:	file format elf64-amdgpu

Disassembly of section .text:

0000000000002a00 <_ZN5aiter45fmoe_stage1_bf16_pertokenFp8_g1u1_112x128_pf3E>:
	s_and_b32 s1, s1, 0xffff                                   // 000000002A00: 8601FF01 0000FFFF
	s_load_dwordx2 s[8:9], s[0:1], 0x0                         // 000000002A08: C0060200 00000000
	s_load_dwordx2 s[20:21], s[0:1], 0x10                      // 000000002A10: C0060500 00000010
	s_load_dwordx2 s[24:25], s[0:1], 0x20                      // 000000002A18: C0060600 00000020
	s_load_dwordx2 s[48:49], s[0:1], 0x30                      // 000000002A20: C0060C00 00000030
	s_load_dwordx2 s[28:29], s[0:1], 0x40                      // 000000002A28: C0060700 00000040
	s_load_dwordx2 s[32:33], s[0:1], 0x50                      // 000000002A30: C0060800 00000050
	s_load_dwordx2 s[36:37], s[0:1], 0x60                      // 000000002A38: C0060900 00000060
	s_load_dwordx2 s[12:13], s[0:1], 0x70                      // 000000002A40: C0060300 00000070
	s_load_dwordx2 s[44:45], s[0:1], 0x80                      // 000000002A48: C0060B00 00000080
	s_mov_b32 s89, 0                                           // 000000002A50: BED90080
	s_load_dword s64, s[0:1], 0x90                             // 000000002A54: C0021000 00000090
	s_load_dword s65, s[0:1], 0xa0                             // 000000002A5C: C0021040 000000A0
	s_load_dword s66, s[0:1], 0xb0                             // 000000002A64: C0021080 000000B0
	s_load_dword s67, s[0:1], 0xc0                             // 000000002A6C: C00210C0 000000C0
	s_load_dword s68, s[0:1], 0xd0                             // 000000002A74: C0021100 000000D0
	s_load_dword s69, s[0:1], 0xe0                             // 000000002A7C: C0021140 000000E0
	s_load_dword s71, s[0:1], 0xf0                             // 000000002A84: C00211C0 000000F0
	s_load_dword s72, s[0:1], 0x100                            // 000000002A8C: C0021200 00000100
	s_load_dword s74, s[0:1], 0x110                            // 000000002A94: C0021280 00000110
	s_load_dword s76, s[0:1], 0x120                            // 000000002A9C: C0021300 00000120
	s_load_dword s56, s[0:1], 0x130                            // 000000002AA4: C0020E00 00000130
	s_load_dword s88, s[0:1], 0x140                            // 000000002AAC: C0021600 00000140
	s_load_dword s89, s[0:1], 0x150                            // 000000002AB4: C0021640 00000150
	v_lshrrev_b32_e32 v1, 10, v0                               // 000000002ABC: 2002008A
	v_lshrrev_b32_e32 v2, 10, v1                               // 000000002AC0: 2004028A
	v_and_b32_e32 v2, 0x3ff, v2                                // 000000002AC4: 260404FF 000003FF
	v_and_b32_e32 v1, 0x3ff, v1                                // 000000002ACC: 260202FF 000003FF
	v_and_b32_e32 v0, 0x3ff, v0                                // 000000002AD4: 260000FF 000003FF
	v_lshrrev_b32_e32 v3, 6, v0                                // 000000002ADC: 20060086
	v_and_b32_e32 v0, 63, v0                                   // 000000002AE0: 260000BF
	s_mov_b32 s2, s2                                           // 000000002AE4: BE820002
	s_mov_b32 s3, s3                                           // 000000002AE8: BE830003
	s_mov_b32 s4, s4                                           // 000000002AEC: BE840004
	v_readfirstlane_b32 s7, v3                                 // 000000002AF0: 7E0E0503
	s_waitcnt lgkmcnt(0)                                       // 000000002AF4: BF8CC07F
	s_and_b32 s49, s49, 0xffff                                 // 000000002AF8: 8631FF31 0000FFFF
	s_load_dword s48, s[48:49], 0x0                            // 000000002B00: C0020C18 00000000
	s_and_b32 s45, s45, 0xffff                                 // 000000002B08: 862DFF2D 0000FFFF
	s_and_b32 s9, s9, 0xffff                                   // 000000002B10: 8609FF09 0000FFFF
	s_mul_i32 s60, s66, s68                                    // 000000002B18: 923C4442
	s_mul_i32 s61, s66, 4                                      // 000000002B1C: 923D8442
	s_mov_b32 s22, s60                                         // 000000002B20: BE96003C
	s_mov_b32 s26, -16                                         // 000000002B24: BE9A00D0
	s_mov_b32 s30, s61                                         // 000000002B28: BE9E003D
	s_mov_b32 s14, 0x1c0                                       // 000000002B2C: BE8E00FF 000001C0
	s_mov_b32 s38, -16                                         // 000000002B34: BEA600D0
	s_mov_b32 s10, -16                                         // 000000002B38: BE8A00D0
	s_mov_b32 s34, 0x200                                       // 000000002B3C: BEA200FF 00000200
	s_mov_b32 s23, 0x20000                                     // 000000002B44: BE9700FF 00020000
	s_mov_b32 s27, 0x20000                                     // 000000002B4C: BE9B00FF 00020000
	s_mov_b32 s31, 0x20000                                     // 000000002B54: BE9F00FF 00020000
	s_mov_b32 s35, 0x20000                                     // 000000002B5C: BEA300FF 00020000
	s_mov_b32 s15, 0x20000                                     // 000000002B64: BE8F00FF 00020000
	s_mov_b32 s39, 0x20000                                     // 000000002B6C: BEA700FF 00020000
	s_mov_b32 s11, 0x20000                                     // 000000002B74: BE8B00FF 00020000
	s_and_b32 s21, s21, 0xffff                                 // 000000002B7C: 8615FF15 0000FFFF
	s_and_b32 s25, s25, 0xffff                                 // 000000002B84: 8619FF19 0000FFFF
	s_and_b32 s29, s29, 0xffff                                 // 000000002B8C: 861DFF1D 0000FFFF
	s_and_b32 s33, s33, 0xffff                                 // 000000002B94: 8621FF21 0000FFFF
	s_and_b32 s13, s13, 0xffff                                 // 000000002B9C: 860DFF0D 0000FFFF
	s_and_b32 s37, s37, 0xffff                                 // 000000002BA4: 8625FF25 0000FFFF
	s_or_b32 s21, s21, 0x40000                                 // 000000002BAC: 8715FF15 00040000
	s_or_b32 s25, s25, 0x40000                                 // 000000002BB4: 8719FF19 00040000
	s_or_b32 s29, s29, 0x40000                                 // 000000002BBC: 871DFF1D 00040000
	s_or_b32 s33, s33, 0x40000                                 // 000000002BC4: 8721FF21 00040000
	s_or_b32 s13, s13, 0x40000                                 // 000000002BCC: 870DFF0D 00040000
	s_or_b32 s37, s37, 0x40000                                 // 000000002BD4: 8725FF25 00040000
	v_accvgpr_write_b32 a159, 0                                // 000000002BDC: D3D9409F 18000080
	v_mov_b32_e32 v187, 0                                      // 000000002BE4: 7F760280
	s_waitcnt lgkmcnt(0)                                       // 000000002BE8: BF8CC07F
	s_mul_i32 s60, s3, 0x70                                    // 000000002BEC: 923CFF03 00000070
	s_cmp_lt_i32 s60, s48                                      // 000000002BF4: BF04303C
	s_cbranch_scc0 label_34E6                                  // 000000002BF8: BF843464
	s_mov_b32 s80, 0                                           // 000000002BFC: BED00080
	s_lshr_b32 s81, s64, s88                                   // 000000002C00: 8F515840
	s_mul_i32 s60, s3, 4                                       // 000000002C04: 923C8403
	s_add_u32 s44, s60, s44                                    // 000000002C08: 802C2C3C
	s_addc_u32 s45, 0, s45                                     // 000000002C0C: 822D2D80
	s_load_dword s5, s[44:45], 0x0                             // 000000002C10: C0020156 00000000
	s_mul_i32 s60, s3, 0x70                                    // 000000002C18: 923CFF03 00000070
	s_mul_i32 s60, 4, s60                                      // 000000002C20: 923C3C84
	s_add_u32 s12, s60, s12                                    // 000000002C24: 800C0C3C
	s_addc_u32 s13, 0, s13                                     // 000000002C28: 820D0D80
	v_and_b32_e32 v4, 15, v0                                   // 000000002C2C: 2608008F
	v_lshlrev_b32_e32 v4, 2, v4                                // 000000002C30: 24080882
	buffer_load_dword v30, v4, s[12:15], 0 offen               // 000000002C34: E0501000 80031E04
	v_add_u32_e32 v4, 64, v4                                   // 000000002C3C: 680808C0
	buffer_load_dword v31, v4, s[12:15], 0 offen               // 000000002C40: E0501000 80031F04
	v_add_u32_e32 v4, 64, v4                                   // 000000002C48: 680808C0
	buffer_load_dword v32, v4, s[12:15], 0 offen               // 000000002C4C: E0501000 80032004
	v_add_u32_e32 v4, 64, v4                                   // 000000002C54: 680808C0
	buffer_load_dword v33, v4, s[12:15], 0 offen               // 000000002C58: E0501000 80032104
	v_add_u32_e32 v4, 64, v4                                   // 000000002C60: 680808C0
	buffer_load_dword v34, v4, s[12:15], 0 offen               // 000000002C64: E0501000 80032204
	v_add_u32_e32 v4, 64, v4                                   // 000000002C6C: 680808C0
	buffer_load_dword v35, v4, s[12:15], 0 offen               // 000000002C70: E0501000 80032304
	v_add_u32_e32 v4, 64, v4                                   // 000000002C78: 680808C0
	buffer_load_dword v36, v4, s[12:15], 0 offen               // 000000002C7C: E0501000 80032404
	v_add_u32_e32 v4, 64, v4                                   // 000000002C84: 680808C0
	s_mul_i32 s60, 4, s7                                       // 000000002C88: 923C0784
	v_lshlrev_b32_e32 v4, 4, v0                                // 000000002C8C: 24080084
	v_add_u32_e32 v4, s60, v4                                  // 000000002C90: 6808083C
	buffer_load_dword v3, v4, s[12:15], 0 offen                // 000000002C94: E0501000 80030304
	v_mov_b32_e32 v76, 0                                       // 000000002C9C: 7E980280
	v_mov_b32_e32 v132, 0                                      // 000000002CA0: 7F080280
	v_mov_b32_e32 v77, 0                                       // 000000002CA4: 7E9A0280
	v_mov_b32_e32 v133, 0                                      // 000000002CA8: 7F0A0280
	v_mov_b32_e32 v78, 0                                       // 000000002CAC: 7E9C0280
	v_mov_b32_e32 v134, 0                                      // 000000002CB0: 7F0C0280
	v_mov_b32_e32 v79, 0                                       // 000000002CB4: 7E9E0280
	v_mov_b32_e32 v135, 0                                      // 000000002CB8: 7F0E0280
	v_mov_b32_e32 v80, 0                                       // 000000002CBC: 7EA00280
	v_mov_b32_e32 v136, 0                                      // 000000002CC0: 7F100280
	v_mov_b32_e32 v81, 0                                       // 000000002CC4: 7EA20280
	v_mov_b32_e32 v137, 0                                      // 000000002CC8: 7F120280
	v_mov_b32_e32 v82, 0                                       // 000000002CCC: 7EA40280
	v_mov_b32_e32 v138, 0                                      // 000000002CD0: 7F140280
	v_mov_b32_e32 v83, 0                                       // 000000002CD4: 7EA60280
	v_mov_b32_e32 v139, 0                                      // 000000002CD8: 7F160280
	v_mov_b32_e32 v84, 0                                       // 000000002CDC: 7EA80280
	v_mov_b32_e32 v140, 0                                      // 000000002CE0: 7F180280
	v_mov_b32_e32 v85, 0                                       // 000000002CE4: 7EAA0280
	v_mov_b32_e32 v141, 0                                      // 000000002CE8: 7F1A0280
	v_mov_b32_e32 v86, 0                                       // 000000002CEC: 7EAC0280
	v_mov_b32_e32 v142, 0                                      // 000000002CF0: 7F1C0280
	v_mov_b32_e32 v87, 0                                       // 000000002CF4: 7EAE0280
	v_mov_b32_e32 v143, 0                                      // 000000002CF8: 7F1E0280
	v_mov_b32_e32 v88, 0                                       // 000000002CFC: 7EB00280
	v_mov_b32_e32 v144, 0                                      // 000000002D00: 7F200280
	v_mov_b32_e32 v89, 0                                       // 000000002D04: 7EB20280
	v_mov_b32_e32 v145, 0                                      // 000000002D08: 7F220280
	v_mov_b32_e32 v90, 0                                       // 000000002D0C: 7EB40280
	v_mov_b32_e32 v146, 0                                      // 000000002D10: 7F240280
	v_mov_b32_e32 v91, 0                                       // 000000002D14: 7EB60280
	v_mov_b32_e32 v147, 0                                      // 000000002D18: 7F260280
	v_mov_b32_e32 v92, 0                                       // 000000002D1C: 7EB80280
	v_mov_b32_e32 v148, 0                                      // 000000002D20: 7F280280
	v_mov_b32_e32 v93, 0                                       // 000000002D24: 7EBA0280
	v_mov_b32_e32 v149, 0                                      // 000000002D28: 7F2A0280
	v_mov_b32_e32 v94, 0                                       // 000000002D2C: 7EBC0280
	v_mov_b32_e32 v150, 0                                      // 000000002D30: 7F2C0280
	v_mov_b32_e32 v95, 0                                       // 000000002D34: 7EBE0280
	v_mov_b32_e32 v151, 0                                      // 000000002D38: 7F2E0280
	v_mov_b32_e32 v96, 0                                       // 000000002D3C: 7EC00280
	v_mov_b32_e32 v152, 0                                      // 000000002D40: 7F300280
	v_mov_b32_e32 v97, 0                                       // 000000002D44: 7EC20280
	v_mov_b32_e32 v153, 0                                      // 000000002D48: 7F320280
	v_mov_b32_e32 v98, 0                                       // 000000002D4C: 7EC40280
	v_mov_b32_e32 v154, 0                                      // 000000002D50: 7F340280
	v_mov_b32_e32 v99, 0                                       // 000000002D54: 7EC60280
	v_mov_b32_e32 v155, 0                                      // 000000002D58: 7F360280
	v_mov_b32_e32 v100, 0                                      // 000000002D5C: 7EC80280
	v_mov_b32_e32 v156, 0                                      // 000000002D60: 7F380280
	v_mov_b32_e32 v101, 0                                      // 000000002D64: 7ECA0280
	v_mov_b32_e32 v157, 0                                      // 000000002D68: 7F3A0280
	v_mov_b32_e32 v102, 0                                      // 000000002D6C: 7ECC0280
	v_mov_b32_e32 v158, 0                                      // 000000002D70: 7F3C0280
	v_mov_b32_e32 v103, 0                                      // 000000002D74: 7ECE0280
	v_mov_b32_e32 v159, 0                                      // 000000002D78: 7F3E0280
	v_mov_b32_e32 v104, 0                                      // 000000002D7C: 7ED00280
	v_mov_b32_e32 v160, 0                                      // 000000002D80: 7F400280
	v_mov_b32_e32 v105, 0                                      // 000000002D84: 7ED20280
	v_mov_b32_e32 v161, 0                                      // 000000002D88: 7F420280
	v_mov_b32_e32 v106, 0                                      // 000000002D8C: 7ED40280
	v_mov_b32_e32 v162, 0                                      // 000000002D90: 7F440280
	v_mov_b32_e32 v107, 0                                      // 000000002D94: 7ED60280
	v_mov_b32_e32 v163, 0                                      // 000000002D98: 7F460280
	v_mov_b32_e32 v108, 0                                      // 000000002D9C: 7ED80280
	v_mov_b32_e32 v164, 0                                      // 000000002DA0: 7F480280
	v_mov_b32_e32 v109, 0                                      // 000000002DA4: 7EDA0280
	v_mov_b32_e32 v165, 0                                      // 000000002DA8: 7F4A0280
	v_mov_b32_e32 v110, 0                                      // 000000002DAC: 7EDC0280
	v_mov_b32_e32 v166, 0                                      // 000000002DB0: 7F4C0280
	v_mov_b32_e32 v111, 0                                      // 000000002DB4: 7EDE0280
	v_mov_b32_e32 v167, 0                                      // 000000002DB8: 7F4E0280
	v_mov_b32_e32 v112, 0                                      // 000000002DBC: 7EE00280
	v_mov_b32_e32 v168, 0                                      // 000000002DC0: 7F500280
	v_mov_b32_e32 v113, 0                                      // 000000002DC4: 7EE20280
	v_mov_b32_e32 v169, 0                                      // 000000002DC8: 7F520280
	v_mov_b32_e32 v114, 0                                      // 000000002DCC: 7EE40280
	v_mov_b32_e32 v170, 0                                      // 000000002DD0: 7F540280
	v_mov_b32_e32 v115, 0                                      // 000000002DD4: 7EE60280
	v_mov_b32_e32 v171, 0                                      // 000000002DD8: 7F560280
	v_mov_b32_e32 v116, 0                                      // 000000002DDC: 7EE80280
	v_mov_b32_e32 v172, 0                                      // 000000002DE0: 7F580280
	v_mov_b32_e32 v117, 0                                      // 000000002DE4: 7EEA0280
	v_mov_b32_e32 v173, 0                                      // 000000002DE8: 7F5A0280
	v_mov_b32_e32 v118, 0                                      // 000000002DEC: 7EEC0280
	v_mov_b32_e32 v174, 0                                      // 000000002DF0: 7F5C0280
	v_mov_b32_e32 v119, 0                                      // 000000002DF4: 7EEE0280
	v_mov_b32_e32 v175, 0                                      // 000000002DF8: 7F5E0280
	v_mov_b32_e32 v120, 0                                      // 000000002DFC: 7EF00280
	v_mov_b32_e32 v176, 0                                      // 000000002E00: 7F600280
	v_mov_b32_e32 v121, 0                                      // 000000002E04: 7EF20280
	v_mov_b32_e32 v177, 0                                      // 000000002E08: 7F620280
	v_mov_b32_e32 v122, 0                                      // 000000002E0C: 7EF40280
	v_mov_b32_e32 v178, 0                                      // 000000002E10: 7F640280
	v_mov_b32_e32 v123, 0                                      // 000000002E14: 7EF60280
	v_mov_b32_e32 v179, 0                                      // 000000002E18: 7F660280
	v_mov_b32_e32 v124, 0                                      // 000000002E1C: 7EF80280
	v_mov_b32_e32 v180, 0                                      // 000000002E20: 7F680280
	v_mov_b32_e32 v125, 0                                      // 000000002E24: 7EFA0280
	v_mov_b32_e32 v181, 0                                      // 000000002E28: 7F6A0280
	v_mov_b32_e32 v126, 0                                      // 000000002E2C: 7EFC0280
	v_mov_b32_e32 v182, 0                                      // 000000002E30: 7F6C0280
	v_mov_b32_e32 v127, 0                                      // 000000002E34: 7EFE0280
	v_mov_b32_e32 v183, 0                                      // 000000002E38: 7F6E0280
	v_mov_b32_e32 v128, 0                                      // 000000002E3C: 7F000280
	v_mov_b32_e32 v184, 0                                      // 000000002E40: 7F700280
	v_mov_b32_e32 v129, 0                                      // 000000002E44: 7F020280
	v_mov_b32_e32 v185, 0                                      // 000000002E48: 7F720280
	v_mov_b32_e32 v130, 0                                      // 000000002E4C: 7F040280
	v_mov_b32_e32 v186, 0                                      // 000000002E50: 7F740280
	v_mov_b32_e32 v131, 0                                      // 000000002E54: 7F060280
	v_mov_b32_e32 v187, 0                                      // 000000002E58: 7F760280
	s_mul_i32 s60, s2, 0x100                                   // 000000002E5C: 923CFF02 00000100
	s_cmp_eq_u32 s88, 0                                        // 000000002E64: BF068058
	s_cselect_b32 s61, 1, 2                                    // 000000002E68: 853D8281
	s_mul_i32 s60, s60, s61                                    // 000000002E6C: 923C3D3C
	s_mov_b32 s90, s8                                          // 000000002E70: BEDA0008
	s_mov_b32 s91, s9                                          // 000000002E74: BEDB0009
	s_add_u32 s8, s60, s8                                      // 000000002E78: 8008083C
	s_addc_u32 s9, 0, s9                                       // 000000002E7C: 82090980
	v_lshrrev_b32_e32 v4, 4, v0                                // 000000002E80: 20080084
	v_mul_lo_u32 v20, 34, v4                                   // 000000002E84: D2850014 000208A2
	v_and_b32_e32 v4, 15, v0                                   // 000000002E8C: 2608008F
	v_mul_lo_u32 v5, 2, v4                                     // 000000002E90: D2850005 00020882
	v_add_u32_e32 v20, v5, v20                                 // 000000002E98: 68282905
	s_mul_i32 s60, s7, 0x88                                    // 000000002E9C: 923CFF07 00000088
	v_add_u32_e32 v20, s60, v20                                // 000000002EA4: 6828283C
	v_lshlrev_b32_e32 v20, 2, v20                              // 000000002EA8: 24282882
	v_and_b32_e32 v4, 31, v0                                   // 000000002EAC: 2608009F
	v_lshrrev_b32_e32 v4, 1, v4                                // 000000002EB0: 20080881
	v_mul_lo_u32 v21, 34, v4                                   // 000000002EB4: D2850015 000208A2
	v_lshrrev_b32_e32 v4, 5, v0                                // 000000002EBC: 20080085
	v_mul_lo_u32 v4, 8, v4                                     // 000000002EC0: D2850004 00020888
	v_add_u32_e32 v21, v21, v4                                 // 000000002EC8: 682A0915
	v_and_b32_e32 v5, 1, v0                                    // 000000002ECC: 260A0081
	v_add_u32_e32 v21, v5, v21                                 // 000000002ED0: 682A2B05
	s_mul_i32 s60, s7, 2                                       // 000000002ED4: 923C8207
	v_add_u32_e32 v21, s60, v21                                // 000000002ED8: 682A2A3C
	v_lshlrev_b32_e32 v21, 2, v21                              // 000000002EDC: 242A2A82
	s_mul_i32 s60, s7, 0xe20                                   // 000000002EE0: 923CFF07 00000E20
	s_add_u32 s48, 0, s60                                      // 000000002EE8: 80303C80
	s_add_u32 s49, 0x3880, s48                                 // 000000002EEC: 803130FF 00003880
	s_add_u32 s50, 0x3880, s49                                 // 000000002EF4: 803231FF 00003880
	v_lshrrev_b32_e32 v4, 4, v0                                // 000000002EFC: 20080084
	v_lshlrev_b32_e32 v5, 2, v4                                // 000000002F00: 240A0882
	v_and_b32_e32 v4, 15, v0                                   // 000000002F04: 2608008F
	v_lshrrev_b32_e32 v6, 2, v4                                // 000000002F08: 200C0882
	v_lshlrev_b32_e32 v6, 5, v6                                // 000000002F0C: 240C0C85
	v_add_u32_e32 v5, v6, v5                                   // 000000002F10: 680A0B06
	v_and_b32_e32 v4, 3, v0                                    // 000000002F14: 26080083
	v_mul_u32_u24_e32 v6, 0x388, v4                            // 000000002F18: 100C08FF 00000388
	v_add_u32_e32 v5, v6, v5                                   // 000000002F20: 680A0B06
	v_lshlrev_b32_e32 v2, 2, v5                                // 000000002F24: 24040A82
	s_waitcnt lgkmcnt(0)                                       // 000000002F28: BF8CC07F
	s_mul_i32 s60, s2, 0x80                                    // 000000002F2C: 923CFF02 00000080
	s_mul_i32 s60, s60, s69                                    // 000000002F34: 923C453C
	s_mul_i32 s61, s5, s72                                     // 000000002F38: 923D4805
	s_add_u32 s60, s61, s60                                    // 000000002F3C: 803C3C3D
	s_add_u32 s24, s60, s24                                    // 000000002F40: 8018183C
	s_addc_u32 s25, 0, s25                                     // 000000002F44: 82191980
	s_lshr_b32 s60, s64, s88                                   // 000000002F48: 8F3C5840
	s_mul_i32 s60, s4, s60                                     // 000000002F4C: 923C3C04
	s_lshr_b32 s60, s60, 7                                     // 000000002F50: 8F3C873C
	s_mul_i32 s60, s60, 0x800                                  // 000000002F54: 923CFF3C 00000800
	s_add_u32 s24, s60, s24                                    // 000000002F5C: 8018183C
	s_addc_u32 s25, 0, s25                                     // 000000002F60: 82191980
	s_lshr_b32 s60, s69, s88                                   // 000000002F64: 8F3C5845
	s_mul_i32 s60, s4, s60                                     // 000000002F68: 923C3C04
	s_add_u32 s20, s60, s20                                    // 000000002F6C: 8014143C
	s_addc_u32 s21, 0, s21                                     // 000000002F70: 82151580
	s_mul_i32 s60, s7, 16                                      // 000000002F74: 923C9007
	s_mul_i32 s60, s60, s69                                    // 000000002F78: 923C453C
	v_lshlrev_b32_e32 v72, 4, v0                               // 000000002F7C: 24900084
	v_add_u32_e32 v72, s60, v72                                // 000000002F80: 6890903C
	s_mul_i32 s60, 64, s69                                     // 000000002F84: 923C45C0
	v_add_u32_e32 v73, s60, v72                                // 000000002F88: 6892903C
	s_mov_b32 s84, s24                                         // 000000002F8C: BED40018
	s_mov_b32 s85, s25                                         // 000000002F90: BED50019
	s_mov_b32 s86, s26                                         // 000000002F94: BED6001A
	s_mov_b32 s87, s27                                         // 000000002F98: BED7001B
	s_mul_i32 s60, s69, s65                                    // 000000002F9C: 923C4145
	s_add_u32 s84, s60, s84                                    // 000000002FA0: 8054543C
	s_addc_u32 s85, 0, s85                                     // 000000002FA4: 82555580
	v_lshrrev_b32_e32 v4, 4, v0                                // 000000002FA8: 20080084
	v_lshlrev_b32_e32 v5, 2, v4                                // 000000002FAC: 240A0882
	v_and_b32_e32 v4, 15, v0                                   // 000000002FB0: 2608008F
	v_lshrrev_b32_e32 v6, 2, v4                                // 000000002FB4: 200C0882
	v_lshlrev_b32_e32 v6, 6, v6                                // 000000002FB8: 240C0C86
	v_add_u32_e32 v5, v6, v5                                   // 000000002FBC: 680A0B06
	v_and_b32_e32 v4, 3, v0                                    // 000000002FC0: 26080083
	v_add_u32_e32 v5, v4, v5                                   // 000000002FC4: 680A0B04
	v_lshlrev_b32_e32 v22, 2, v5                               // 000000002FC8: 242C0A82
	s_mul_i32 s60, s7, 16                                      // 000000002FCC: 923C9007
	s_mul_i32 s60, s60, 4                                      // 000000002FD0: 923C843C
	v_add_u32_e32 v22, s60, v22                                // 000000002FD4: 682C2C3C
	s_mul_i32 s60, s2, 0x80                                    // 000000002FD8: 923CFF02 00000080
	s_mul_i32 s60, s60, 4                                      // 000000002FE0: 923C843C
	s_mul_i32 s61, s5, s74                                     // 000000002FE4: 923D4A05
	s_add_u32 s61, s61, s60                                    // 000000002FE8: 803D3C3D
	s_add_u32 s32, s61, s32                                    // 000000002FEC: 8020203D
	s_addc_u32 s33, 0, s33                                     // 000000002FF0: 82212180
	s_mov_b32 s57, 0x80                                        // 000000002FF4: BEB900FF 00000080
	s_mov_b32 s58, 0x800                                       // 000000002FFC: BEBA00FF 00000800
	s_mov_b32 s83, s58                                         // 000000003004: BED3003A
	s_mov_b32 s52, 0x7060302                                   // 000000003008: BEB400FF 07060302
	s_mov_b32 s53, 0x400                                       // 000000003010: BEB500FF 00000400
	s_mov_b32 s54, 0x40100                                     // 000000003018: BEB600FF 00040100
	s_mov_b32 s55, 0x4020100                                   // 000000003020: BEB700FF 04020100
	s_mov_b32 s6, 0x3fb8aa3b                                   // 000000003028: BE8600FF 3FB8AA3B
	s_mov_b32 s78, 0xbd92220c                                  // 000000003030: BECE00FF BD92220C
	s_mov_b32 s79, 0xbd92220c                                  // 000000003038: BECF00FF BD92220C
	s_mov_b32 m0, s48                                          // 000000003040: BEFC0030
	v_mov_b32_e32 v1, 0xbfcc4231                               // 000000003044: 7E0202FF BFCC4231
	v_mov_b32_e32 v17, 0xffff0000                              // 00000000304C: 7E2202FF FFFF0000
	v_mov_b32_e32 v18, 0x7fff0000                              // 000000003054: 7E2402FF 7FFF0000
	v_mov_b32_e32 v19, 0x7fff                                  // 00000000305C: 7E2602FF 00007FFF
	s_waitcnt vmcnt(0) expcnt(0) lgkmcnt(0)                    // 000000003064: BF8C0000
	v_lshrrev_b32_e32 v4, 5, v0                                // 000000003068: 20080085
	v_xor_b32_e32 v5, 1, v4                                    // 00000000306C: 2A0A0881
	v_readlane_b32 s82, v3, 0                                  // 000000003070: D2890052 00010103
	s_and_b32 s82, s82, 0xffffff                               // 000000003078: 8652FF52 00FFFFFF
	v_mul_lo_u32 v6, v5, s82                                   // 000000003080: D2850006 0000A505
	v_readlane_b32 s82, v3, 1                                  // 000000003088: D2890052 00010303
	s_and_b32 s82, s82, 0xffffff                               // 000000003090: 8652FF52 00FFFFFF
	v_mul_lo_u32 v7, v4, s82                                   // 000000003098: D2850007 0000A504
	v_add_u32_e32 v58, v6, v7                                  // 0000000030A0: 68740F06
	v_mul_lo_u32 v58, v58, s68                                 // 0000000030A4: D285003A 0000893A
	v_readlane_b32 s82, v3, 2                                  // 0000000030AC: D2890052 00010503
	s_and_b32 s82, s82, 0xffffff                               // 0000000030B4: 8652FF52 00FFFFFF
	v_mul_lo_u32 v6, v5, s82                                   // 0000000030BC: D2850006 0000A505
	v_readlane_b32 s82, v3, 3                                  // 0000000030C4: D2890052 00010703
	s_and_b32 s82, s82, 0xffffff                               // 0000000030CC: 8652FF52 00FFFFFF
	v_mul_lo_u32 v7, v4, s82                                   // 0000000030D4: D2850007 0000A504
	v_add_u32_e32 v59, v6, v7                                  // 0000000030DC: 68760F06
	v_mul_lo_u32 v59, v59, s68                                 // 0000000030E0: D285003B 0000893B
	v_readlane_b32 s82, v3, 4                                  // 0000000030E8: D2890052 00010903
	s_and_b32 s82, s82, 0xffffff                               // 0000000030F0: 8652FF52 00FFFFFF
	v_mul_lo_u32 v6, v5, s82                                   // 0000000030F8: D2850006 0000A505
	v_readlane_b32 s82, v3, 5                                  // 000000003100: D2890052 00010B03
	s_and_b32 s82, s82, 0xffffff                               // 000000003108: 8652FF52 00FFFFFF
	v_mul_lo_u32 v7, v4, s82                                   // 000000003110: D2850007 0000A504
	v_add_u32_e32 v60, v6, v7                                  // 000000003118: 68780F06
	v_mul_lo_u32 v60, v60, s68                                 // 00000000311C: D285003C 0000893C
	v_readlane_b32 s82, v3, 6                                  // 000000003124: D2890052 00010D03
	s_and_b32 s82, s82, 0xffffff                               // 00000000312C: 8652FF52 00FFFFFF
	v_mul_lo_u32 v6, v5, s82                                   // 000000003134: D2850006 0000A505
	v_readlane_b32 s82, v3, 7                                  // 00000000313C: D2890052 00010F03
	s_and_b32 s82, s82, 0xffffff                               // 000000003144: 8652FF52 00FFFFFF
	v_mul_lo_u32 v7, v4, s82                                   // 00000000314C: D2850007 0000A504
	v_add_u32_e32 v61, v6, v7                                  // 000000003154: 687A0F06
	v_mul_lo_u32 v61, v61, s68                                 // 000000003158: D285003D 0000893D
	v_readlane_b32 s82, v3, 8                                  // 000000003160: D2890052 00011103
	s_and_b32 s82, s82, 0xffffff                               // 000000003168: 8652FF52 00FFFFFF
	v_mul_lo_u32 v6, v5, s82                                   // 000000003170: D2850006 0000A505
	v_readlane_b32 s82, v3, 9                                  // 000000003178: D2890052 00011303
	s_and_b32 s82, s82, 0xffffff                               // 000000003180: 8652FF52 00FFFFFF
	v_mul_lo_u32 v7, v4, s82                                   // 000000003188: D2850007 0000A504
	v_add_u32_e32 v62, v6, v7                                  // 000000003190: 687C0F06
	v_mul_lo_u32 v62, v62, s68                                 // 000000003194: D285003E 0000893E
	v_readlane_b32 s82, v3, 10                                 // 00000000319C: D2890052 00011503
	s_and_b32 s82, s82, 0xffffff                               // 0000000031A4: 8652FF52 00FFFFFF
	v_mul_lo_u32 v6, v5, s82                                   // 0000000031AC: D2850006 0000A505
	v_readlane_b32 s82, v3, 11                                 // 0000000031B4: D2890052 00011703
	s_and_b32 s82, s82, 0xffffff                               // 0000000031BC: 8652FF52 00FFFFFF
	v_mul_lo_u32 v7, v4, s82                                   // 0000000031C4: D2850007 0000A504
	v_add_u32_e32 v63, v6, v7                                  // 0000000031CC: 687E0F06
	v_mul_lo_u32 v63, v63, s68                                 // 0000000031D0: D285003F 0000893F
	v_readlane_b32 s82, v3, 12                                 // 0000000031D8: D2890052 00011903
	s_and_b32 s82, s82, 0xffffff                               // 0000000031E0: 8652FF52 00FFFFFF
	v_mul_lo_u32 v6, v5, s82                                   // 0000000031E8: D2850006 0000A505
	v_readlane_b32 s82, v3, 13                                 // 0000000031F0: D2890052 00011B03
	s_and_b32 s82, s82, 0xffffff                               // 0000000031F8: 8652FF52 00FFFFFF
	v_mul_lo_u32 v7, v4, s82                                   // 000000003200: D2850007 0000A504
	v_add_u32_e32 v64, v6, v7                                  // 000000003208: 68800F06
	v_mul_lo_u32 v64, v64, s68                                 // 00000000320C: D2850040 00008940
	v_readlane_b32 s82, v3, 14                                 // 000000003214: D2890052 00011D03
	s_and_b32 s82, s82, 0xffffff                               // 00000000321C: 8652FF52 00FFFFFF
	v_mul_lo_u32 v6, v5, s82                                   // 000000003224: D2850006 0000A505
	v_readlane_b32 s82, v3, 15                                 // 00000000322C: D2890052 00011F03
	s_and_b32 s82, s82, 0xffffff                               // 000000003234: 8652FF52 00FFFFFF
	v_mul_lo_u32 v7, v4, s82                                   // 00000000323C: D2850007 0000A504
	v_add_u32_e32 v65, v6, v7                                  // 000000003244: 68820F06
	v_mul_lo_u32 v65, v65, s68                                 // 000000003248: D2850041 00008941
	v_readlane_b32 s82, v3, 16                                 // 000000003250: D2890052 00012103
	s_and_b32 s82, s82, 0xffffff                               // 000000003258: 8652FF52 00FFFFFF
	v_mul_lo_u32 v6, v5, s82                                   // 000000003260: D2850006 0000A505
	v_readlane_b32 s82, v3, 17                                 // 000000003268: D2890052 00012303
	s_and_b32 s82, s82, 0xffffff                               // 000000003270: 8652FF52 00FFFFFF
	v_mul_lo_u32 v7, v4, s82                                   // 000000003278: D2850007 0000A504
	v_add_u32_e32 v66, v6, v7                                  // 000000003280: 68840F06
	v_mul_lo_u32 v66, v66, s68                                 // 000000003284: D2850042 00008942
	v_readlane_b32 s82, v3, 18                                 // 00000000328C: D2890052 00012503
	s_and_b32 s82, s82, 0xffffff                               // 000000003294: 8652FF52 00FFFFFF
	v_mul_lo_u32 v6, v5, s82                                   // 00000000329C: D2850006 0000A505
	v_readlane_b32 s82, v3, 19                                 // 0000000032A4: D2890052 00012703
	s_and_b32 s82, s82, 0xffffff                               // 0000000032AC: 8652FF52 00FFFFFF
	v_mul_lo_u32 v7, v4, s82                                   // 0000000032B4: D2850007 0000A504
	v_add_u32_e32 v67, v6, v7                                  // 0000000032BC: 68860F06
	v_mul_lo_u32 v67, v67, s68                                 // 0000000032C0: D2850043 00008943
	v_readlane_b32 s82, v3, 20                                 // 0000000032C8: D2890052 00012903
	s_and_b32 s82, s82, 0xffffff                               // 0000000032D0: 8652FF52 00FFFFFF
	v_mul_lo_u32 v6, v5, s82                                   // 0000000032D8: D2850006 0000A505
	v_readlane_b32 s82, v3, 21                                 // 0000000032E0: D2890052 00012B03
	s_and_b32 s82, s82, 0xffffff                               // 0000000032E8: 8652FF52 00FFFFFF
	v_mul_lo_u32 v7, v4, s82                                   // 0000000032F0: D2850007 0000A504
	v_add_u32_e32 v68, v6, v7                                  // 0000000032F8: 68880F06
	v_mul_lo_u32 v68, v68, s68                                 // 0000000032FC: D2850044 00008944
	v_readlane_b32 s82, v3, 22                                 // 000000003304: D2890052 00012D03
	s_and_b32 s82, s82, 0xffffff                               // 00000000330C: 8652FF52 00FFFFFF
	v_mul_lo_u32 v6, v5, s82                                   // 000000003314: D2850006 0000A505
	v_readlane_b32 s82, v3, 23                                 // 00000000331C: D2890052 00012F03
	s_and_b32 s82, s82, 0xffffff                               // 000000003324: 8652FF52 00FFFFFF
	v_mul_lo_u32 v7, v4, s82                                   // 00000000332C: D2850007 0000A504
	v_add_u32_e32 v69, v6, v7                                  // 000000003334: 688A0F06
	v_mul_lo_u32 v69, v69, s68                                 // 000000003338: D2850045 00008945
	v_readlane_b32 s82, v3, 24                                 // 000000003340: D2890052 00013103
	s_and_b32 s82, s82, 0xffffff                               // 000000003348: 8652FF52 00FFFFFF
	v_mul_lo_u32 v6, v5, s82                                   // 000000003350: D2850006 0000A505
	v_readlane_b32 s82, v3, 25                                 // 000000003358: D2890052 00013303
	s_and_b32 s82, s82, 0xffffff                               // 000000003360: 8652FF52 00FFFFFF
	v_mul_lo_u32 v7, v4, s82                                   // 000000003368: D2850007 0000A504
	v_add_u32_e32 v70, v6, v7                                  // 000000003370: 688C0F06
	v_mul_lo_u32 v70, v70, s68                                 // 000000003374: D2850046 00008946
	v_readlane_b32 s82, v3, 26                                 // 00000000337C: D2890052 00013503
	s_and_b32 s82, s82, 0xffffff                               // 000000003384: 8652FF52 00FFFFFF
	v_mul_lo_u32 v6, v5, s82                                   // 00000000338C: D2850006 0000A505
	v_readlane_b32 s82, v3, 27                                 // 000000003394: D2890052 00013703
	s_and_b32 s82, s82, 0xffffff                               // 00000000339C: 8652FF52 00FFFFFF
	v_mul_lo_u32 v7, v4, s82                                   // 0000000033A4: D2850007 0000A504
	v_add_u32_e32 v71, v6, v7                                  // 0000000033AC: 688E0F06
	v_mul_lo_u32 v71, v71, s68                                 // 0000000033B0: D2850047 00008947
	v_and_b32_e32 v4, 31, v0                                   // 0000000033B8: 2608009F
	v_lshlrev_b32_e32 v4, 2, v4                                // 0000000033BC: 24080882
	v_add_u32_e32 v58, v58, v4                                 // 0000000033C0: 6874093A
	v_add_u32_e32 v59, v59, v4                                 // 0000000033C4: 6876093B
	v_add_u32_e32 v60, v60, v4                                 // 0000000033C8: 6878093C
	v_add_u32_e32 v61, v61, v4                                 // 0000000033CC: 687A093D
	v_add_u32_e32 v62, v62, v4                                 // 0000000033D0: 687C093E
	v_add_u32_e32 v63, v63, v4                                 // 0000000033D4: 687E093F
	v_add_u32_e32 v64, v64, v4                                 // 0000000033D8: 68800940
	v_add_u32_e32 v65, v65, v4                                 // 0000000033DC: 68820941
	v_add_u32_e32 v66, v66, v4                                 // 0000000033E0: 68840942
	v_add_u32_e32 v67, v67, v4                                 // 0000000033E4: 68860943
	v_add_u32_e32 v68, v68, v4                                 // 0000000033E8: 68880944
	v_add_u32_e32 v69, v69, v4                                 // 0000000033EC: 688A0945
	v_add_u32_e32 v70, v70, v4                                 // 0000000033F0: 688C0946
	v_add_u32_e32 v71, v71, v4                                 // 0000000033F4: 688E0947
	v_and_b32_e32 v30, 0xffffff, v30                           // 0000000033F8: 263C3CFF 00FFFFFF
	v_lshlrev_b32_e32 v30, 2, v30                              // 000000003400: 243C3C82
	v_and_b32_e32 v31, 0xffffff, v31                           // 000000003404: 263E3EFF 00FFFFFF
	v_lshlrev_b32_e32 v31, 2, v31                              // 00000000340C: 243E3E82
	v_and_b32_e32 v32, 0xffffff, v32                           // 000000003410: 264040FF 00FFFFFF
	v_lshlrev_b32_e32 v32, 2, v32                              // 000000003418: 24404082
	v_and_b32_e32 v33, 0xffffff, v33                           // 00000000341C: 264242FF 00FFFFFF
	v_lshlrev_b32_e32 v33, 2, v33                              // 000000003424: 24424282
	v_and_b32_e32 v34, 0xffffff, v34                           // 000000003428: 264444FF 00FFFFFF
	v_lshlrev_b32_e32 v34, 2, v34                              // 000000003430: 24444482
	v_and_b32_e32 v35, 0xffffff, v35                           // 000000003434: 264646FF 00FFFFFF
	v_lshlrev_b32_e32 v35, 2, v35                              // 00000000343C: 24464682
	v_and_b32_e32 v36, 0xffffff, v36                           // 000000003440: 264848FF 00FFFFFF
	v_lshlrev_b32_e32 v36, 2, v36                              // 000000003448: 24484882
	s_lshl_b32 s3, s66, 2                                      // 00000000344C: 8E038242
	buffer_load_dword v37, v30, s[28:31], 0 offen              // 000000003450: E0501000 8007251E
	buffer_load_dword v38, v31, s[28:31], 0 offen              // 000000003458: E0501000 8007261F
	buffer_load_dword v39, v32, s[28:31], 0 offen              // 000000003460: E0501000 80072720
	buffer_load_dword v40, v33, s[28:31], 0 offen              // 000000003468: E0501000 80072821
	;; [unrolled: 1-line block ×3, first 2 shown]
	buffer_load_dword v42, v35, s[28:31], 0 offen              // 000000003478: E0501000 80072A23
	buffer_load_dword v43, v36, s[28:31], 0 offen              // 000000003480: E0501000 80072B24
	buffer_load_dword v24, v22, s[32:35], 0 offen              // 000000003488: E0501000 80081816
	s_mul_i32 s60, 4, s65                                      // 000000003490: 923C4184
	s_add_u32 s32, s60, s32                                    // 000000003494: 8020203C
	s_addc_u32 s33, 0, s33                                     // 000000003498: 82212180
	buffer_load_dword v27, v22, s[32:35], 0 offen              // 00000000349C: E0501000 80081B16
	buffer_load_dword v58, s[20:23], 0 offen lds               // 0000000034A4: E0511000 8005003A
	s_add_u32 m0, 0x100, s48                                   // 0000000034AC: 807C30FF 00000100
	buffer_load_dword v59, s[20:23], 0 offen lds               // 0000000034B4: E0511000 8005003B
	s_add_u32 m0, 0x200, s48                                   // 0000000034BC: 807C30FF 00000200
	buffer_load_dword v60, s[20:23], 0 offen lds               // 0000000034C4: E0511000 8005003C
	s_add_u32 m0, 0x300, s48                                   // 0000000034CC: 807C30FF 00000300
	buffer_load_dword v61, s[20:23], 0 offen lds               // 0000000034D4: E0511000 8005003D
	s_add_u32 m0, 0x400, s48                                   // 0000000034DC: 807C30FF 00000400
	buffer_load_dword v62, s[20:23], 0 offen lds               // 0000000034E4: E0511000 8005003E
	s_add_u32 m0, 0x500, s48                                   // 0000000034EC: 807C30FF 00000500
	buffer_load_dword v63, s[20:23], 0 offen lds               // 0000000034F4: E0511000 8005003F
	s_add_u32 m0, 0x600, s48                                   // 0000000034FC: 807C30FF 00000600
	buffer_load_dword v64, s[20:23], 0 offen lds               // 000000003504: E0511000 80050040
	s_add_u32 m0, 0x700, s48                                   // 00000000350C: 807C30FF 00000700
	buffer_load_dword v65, s[20:23], 0 offen lds               // 000000003514: E0511000 80050041
	s_add_u32 m0, 0x800, s48                                   // 00000000351C: 807C30FF 00000800
	buffer_load_dword v66, s[20:23], 0 offen lds               // 000000003524: E0511000 80050042
	s_add_u32 m0, 0x900, s48                                   // 00000000352C: 807C30FF 00000900
	buffer_load_dword v67, s[20:23], 0 offen lds               // 000000003534: E0511000 80050043
	s_add_u32 m0, 0xa00, s48                                   // 00000000353C: 807C30FF 00000A00
	buffer_load_dword v68, s[20:23], 0 offen lds               // 000000003544: E0511000 80050044
	s_add_u32 m0, 0xb00, s48                                   // 00000000354C: 807C30FF 00000B00
	buffer_load_dword v69, s[20:23], 0 offen lds               // 000000003554: E0511000 80050045
	s_add_u32 m0, 0xc00, s48                                   // 00000000355C: 807C30FF 00000C00
	buffer_load_dword v70, s[20:23], 0 offen lds               // 000000003564: E0511000 80050046
	s_add_u32 m0, 0xd00, s48                                   // 00000000356C: 807C30FF 00000D00
	buffer_load_dword v71, s[20:23], 0 offen lds               // 000000003574: E0511000 80050047
	s_add_u32 m0, 0, s49                                       // 00000000357C: 807C3180
	s_add_u32 s20, s57, s20                                    // 000000003580: 80141439
	s_addc_u32 s21, 0, s21                                     // 000000003584: 82151580
	buffer_load_dwordx4 a[112:115], v72, s[24:27], 0 offen     // 000000003588: E05C1000 80867048
	buffer_load_dwordx4 a[116:119], v72, s[24:27], 0 offen offset:1024// 000000003590: E05C1400 80867448
	buffer_load_dwordx4 a[120:123], v73, s[24:27], 0 offen     // 000000003598: E05C1000 80867849
	buffer_load_dwordx4 a[124:127], v73, s[24:27], 0 offen offset:1024// 0000000035A0: E05C1400 80867C49
	s_add_u32 s24, s58, s24                                    // 0000000035A8: 8018183A
	s_addc_u32 s25, 0, s25                                     // 0000000035AC: 82191980
	buffer_load_dword v58, s[20:23], 0 offen lds               // 0000000035B0: E0511000 8005003A
	s_add_u32 m0, 0x100, s49                                   // 0000000035B8: 807C31FF 00000100
	buffer_load_dword v59, s[20:23], 0 offen lds               // 0000000035C0: E0511000 8005003B
	s_add_u32 m0, 0x200, s49                                   // 0000000035C8: 807C31FF 00000200
	buffer_load_dword v60, s[20:23], 0 offen lds               // 0000000035D0: E0511000 8005003C
	s_add_u32 m0, 0x300, s49                                   // 0000000035D8: 807C31FF 00000300
	buffer_load_dword v61, s[20:23], 0 offen lds               // 0000000035E0: E0511000 8005003D
	s_add_u32 m0, 0x400, s49                                   // 0000000035E8: 807C31FF 00000400
	buffer_load_dword v62, s[20:23], 0 offen lds               // 0000000035F0: E0511000 8005003E
	s_add_u32 m0, 0x500, s49                                   // 0000000035F8: 807C31FF 00000500
	buffer_load_dword v63, s[20:23], 0 offen lds               // 000000003600: E0511000 8005003F
	s_add_u32 m0, 0x600, s49                                   // 000000003608: 807C31FF 00000600
	buffer_load_dword v64, s[20:23], 0 offen lds               // 000000003610: E0511000 80050040
	s_add_u32 m0, 0x700, s49                                   // 000000003618: 807C31FF 00000700
	buffer_load_dword v65, s[20:23], 0 offen lds               // 000000003620: E0511000 80050041
	;; [unrolled: 2-line block ×4, first 2 shown]
	s_add_u32 m0, 0xa00, s49                                   // 000000003648: 807C31FF 00000A00
	buffer_load_dword v68, s[20:23], 0 offen lds               // 000000003650: E0511000 80050044
	s_add_u32 m0, 0xb00, s49                                   // 000000003658: 807C31FF 00000B00
	buffer_load_dword v69, s[20:23], 0 offen lds               // 000000003660: E0511000 80050045
	s_add_u32 m0, 0xc00, s49                                   // 000000003668: 807C31FF 00000C00
	buffer_load_dword v70, s[20:23], 0 offen lds               // 000000003670: E0511000 80050046
	s_add_u32 m0, 0xd00, s49                                   // 000000003678: 807C31FF 00000D00
	buffer_load_dword v71, s[20:23], 0 offen lds               // 000000003680: E0511000 80050047
	s_add_u32 m0, 0, s50                                       // 000000003688: 807C3280
	s_add_u32 s20, s57, s20                                    // 00000000368C: 80141439
	s_addc_u32 s21, 0, s21                                     // 000000003690: 82151580
	buffer_load_dwordx4 a[128:131], v72, s[84:87], 0 offen     // 000000003694: E05C1000 80958048
	buffer_load_dwordx4 a[132:135], v72, s[84:87], 0 offen offset:1024// 00000000369C: E05C1400 80958448
	buffer_load_dwordx4 a[136:139], v73, s[84:87], 0 offen     // 0000000036A4: E05C1000 80958849
	buffer_load_dwordx4 a[140:143], v73, s[84:87], 0 offen offset:1024// 0000000036AC: E05C1400 80958C49
	s_add_u32 s84, s83, s84                                    // 0000000036B4: 80545453
	s_addc_u32 s85, 0, s85                                     // 0000000036B8: 82555580
	s_waitcnt vmcnt(22)                                        // 0000000036BC: BF8C4F76
	s_barrier                                                  // 0000000036C0: BF8A0000
	ds_read_b128 a[0:3], v2                                    // 0000000036C4: DBFE0000 00000002
	ds_read_b128 a[4:7], v2 offset:64                          // 0000000036CC: DBFE0040 04000002
	ds_read_b128 a[8:11], v2 offset:512                        // 0000000036D4: DBFE0200 08000002
	ds_read_b128 a[12:15], v2 offset:576                       // 0000000036DC: DBFE0240 0C000002
	ds_read_b128 a[16:19], v2 offset:1024                      // 0000000036E4: DBFE0400 10000002
	ds_read_b128 a[20:23], v2 offset:1088                      // 0000000036EC: DBFE0440 14000002
	ds_read_b128 a[24:27], v2 offset:1536                      // 0000000036F4: DBFE0600 18000002
	ds_read_b128 a[28:31], v2 offset:1600                      // 0000000036FC: DBFE0640 1C000002
	ds_read_b128 a[32:35], v2 offset:2048                      // 000000003704: DBFE0800 20000002
	ds_read_b128 a[36:39], v2 offset:2112                      // 00000000370C: DBFE0840 24000002
	ds_read_b128 a[40:43], v2 offset:2560                      // 000000003714: DBFE0A00 28000002
	ds_read_b128 a[44:47], v2 offset:2624                      // 00000000371C: DBFE0A40 2C000002
	ds_read_b128 a[48:51], v2 offset:3072                      // 000000003724: DBFE0C00 30000002
	ds_read_b128 a[52:55], v2 offset:3136                      // 00000000372C: DBFE0C40 34000002
	s_cmp_lt_i32 s7, 2                                         // 000000003734: BF048207
	s_cbranch_scc0 label_1C1C                                  // 000000003738: BF8418CA

000000000000373c <label_034F>:
	s_waitcnt vmcnt(18) lgkmcnt(0)                             // 00000000373C: BF8C4072
	v_mfma_f32_16x16x32_fp8_fp8 v[76:79], a[112:113], a[0:1], v[76:79]// 000000003740: D3F3004C 1D320170
	v_mfma_f32_16x16x32_fp8_fp8 v[76:79], a[114:115], a[2:3], v[76:79]// 000000003748: D3F3004C 1D320572
	buffer_load_dwordx4 a[144:147], v72, s[24:27], 0 offen     // 000000003750: E05C1000 80869048
	v_mfma_f32_16x16x32_fp8_fp8 v[76:79], a[116:117], a[4:5], v[76:79]// 000000003758: D3F3004C 1D320974
	v_mfma_f32_16x16x32_fp8_fp8 v[76:79], a[118:119], a[6:7], v[76:79]// 000000003760: D3F3004C 1D320D76
	v_mfma_f32_16x16x32_fp8_fp8 v[104:107], a[120:121], a[0:1], v[104:107]// 000000003768: D3F30068 1DA20178
	v_mfma_f32_16x16x32_fp8_fp8 v[104:107], a[122:123], a[2:3], v[104:107]// 000000003770: D3F30068 1DA2057A
	buffer_load_dwordx4 a[148:151], v72, s[24:27], 0 offen offset:1024// 000000003778: E05C1400 80869448
	v_mfma_f32_16x16x32_fp8_fp8 v[104:107], a[124:125], a[4:5], v[104:107]// 000000003780: D3F30068 1DA2097C
	v_mfma_f32_16x16x32_fp8_fp8 v[104:107], a[126:127], a[6:7], v[104:107]// 000000003788: D3F30068 1DA20D7E
	v_mfma_f32_16x16x32_fp8_fp8 v[80:83], a[112:113], a[8:9], v[80:83]// 000000003790: D3F30050 1D421170
	v_mfma_f32_16x16x32_fp8_fp8 v[80:83], a[114:115], a[10:11], v[80:83]// 000000003798: D3F30050 1D421572
	buffer_load_dwordx4 a[152:155], v73, s[24:27], 0 offen     // 0000000037A0: E05C1000 80869849
	v_mfma_f32_16x16x32_fp8_fp8 v[80:83], a[116:117], a[12:13], v[80:83]// 0000000037A8: D3F30050 1D421974
	v_mfma_f32_16x16x32_fp8_fp8 v[80:83], a[118:119], a[14:15], v[80:83]// 0000000037B0: D3F30050 1D421D76
	v_mfma_f32_16x16x32_fp8_fp8 v[108:111], a[120:121], a[8:9], v[108:111]// 0000000037B8: D3F3006C 1DB21178
	v_mfma_f32_16x16x32_fp8_fp8 v[108:111], a[122:123], a[10:11], v[108:111]// 0000000037C0: D3F3006C 1DB2157A
	buffer_load_dwordx4 a[156:159], v73, s[24:27], 0 offen offset:1024// 0000000037C8: E05C1400 80869C49
	buffer_load_dword v58, s[20:23], 0 offen lds               // 0000000037D0: E0511000 8005003A
	s_add_u32 m0, 0x100, s50                                   // 0000000037D8: 807C32FF 00000100
	v_mfma_f32_16x16x32_fp8_fp8 v[108:111], a[124:125], a[12:13], v[108:111]// 0000000037E0: D3F3006C 1DB2197C
	v_mfma_f32_16x16x32_fp8_fp8 v[108:111], a[126:127], a[14:15], v[108:111]// 0000000037E8: D3F3006C 1DB21D7E
	buffer_load_dword v59, s[20:23], 0 offen lds               // 0000000037F0: E0511000 8005003B
	s_add_u32 m0, 0x200, s50                                   // 0000000037F8: 807C32FF 00000200
	v_mfma_f32_16x16x32_fp8_fp8 v[84:87], a[112:113], a[16:17], v[84:87]// 000000003800: D3F30054 1D522170
	v_mfma_f32_16x16x32_fp8_fp8 v[84:87], a[114:115], a[18:19], v[84:87]// 000000003808: D3F30054 1D522572
	buffer_load_dword v60, s[20:23], 0 offen lds               // 000000003810: E0511000 8005003C
	s_add_u32 m0, 0x300, s50                                   // 000000003818: 807C32FF 00000300
	v_mfma_f32_16x16x32_fp8_fp8 v[84:87], a[116:117], a[20:21], v[84:87]// 000000003820: D3F30054 1D522974
	v_mfma_f32_16x16x32_fp8_fp8 v[84:87], a[118:119], a[22:23], v[84:87]// 000000003828: D3F30054 1D522D76
	buffer_load_dword v61, s[20:23], 0 offen lds               // 000000003830: E0511000 8005003D
	s_add_u32 m0, 0x400, s50                                   // 000000003838: 807C32FF 00000400
	v_mfma_f32_16x16x32_fp8_fp8 v[112:115], a[120:121], a[16:17], v[112:115]// 000000003840: D3F30070 1DC22178
	v_mfma_f32_16x16x32_fp8_fp8 v[112:115], a[122:123], a[18:19], v[112:115]// 000000003848: D3F30070 1DC2257A
	buffer_load_dword v62, s[20:23], 0 offen lds               // 000000003850: E0511000 8005003E
	s_add_u32 m0, 0x500, s50                                   // 000000003858: 807C32FF 00000500
	v_mfma_f32_16x16x32_fp8_fp8 v[112:115], a[124:125], a[20:21], v[112:115]// 000000003860: D3F30070 1DC2297C
	v_mfma_f32_16x16x32_fp8_fp8 v[112:115], a[126:127], a[22:23], v[112:115]// 000000003868: D3F30070 1DC22D7E
	buffer_load_dword v63, s[20:23], 0 offen lds               // 000000003870: E0511000 8005003F
	s_add_u32 m0, 0x600, s50                                   // 000000003878: 807C32FF 00000600
	v_mfma_f32_16x16x32_fp8_fp8 v[88:91], a[112:113], a[24:25], v[88:91]// 000000003880: D3F30058 1D623170
	v_mfma_f32_16x16x32_fp8_fp8 v[88:91], a[114:115], a[26:27], v[88:91]// 000000003888: D3F30058 1D623572
	buffer_load_dword v64, s[20:23], 0 offen lds               // 000000003890: E0511000 80050040
	s_add_u32 m0, 0x700, s50                                   // 000000003898: 807C32FF 00000700
	v_mfma_f32_16x16x32_fp8_fp8 v[88:91], a[116:117], a[28:29], v[88:91]// 0000000038A0: D3F30058 1D623974
	v_mfma_f32_16x16x32_fp8_fp8 v[88:91], a[118:119], a[30:31], v[88:91]// 0000000038A8: D3F30058 1D623D76
	buffer_load_dword v65, s[20:23], 0 offen lds               // 0000000038B0: E0511000 80050041
	s_add_u32 m0, 0x800, s50                                   // 0000000038B8: 807C32FF 00000800
	v_mfma_f32_16x16x32_fp8_fp8 v[116:119], a[120:121], a[24:25], v[116:119]// 0000000038C0: D3F30074 1DD23178
	v_mfma_f32_16x16x32_fp8_fp8 v[116:119], a[122:123], a[26:27], v[116:119]// 0000000038C8: D3F30074 1DD2357A
	buffer_load_dword v66, s[20:23], 0 offen lds               // 0000000038D0: E0511000 80050042
	s_add_u32 m0, 0x900, s50                                   // 0000000038D8: 807C32FF 00000900
	v_mfma_f32_16x16x32_fp8_fp8 v[116:119], a[124:125], a[28:29], v[116:119]// 0000000038E0: D3F30074 1DD2397C
	v_mfma_f32_16x16x32_fp8_fp8 v[116:119], a[126:127], a[30:31], v[116:119]// 0000000038E8: D3F30074 1DD23D7E
	buffer_load_dword v67, s[20:23], 0 offen lds               // 0000000038F0: E0511000 80050043
	s_add_u32 m0, 0xa00, s50                                   // 0000000038F8: 807C32FF 00000A00
	v_mfma_f32_16x16x32_fp8_fp8 v[92:95], a[112:113], a[32:33], v[92:95]// 000000003900: D3F3005C 1D724170
	v_mfma_f32_16x16x32_fp8_fp8 v[92:95], a[114:115], a[34:35], v[92:95]// 000000003908: D3F3005C 1D724572
	buffer_load_dword v68, s[20:23], 0 offen lds               // 000000003910: E0511000 80050044
	s_add_u32 m0, 0xb00, s50                                   // 000000003918: 807C32FF 00000B00
	v_mfma_f32_16x16x32_fp8_fp8 v[92:95], a[116:117], a[36:37], v[92:95]// 000000003920: D3F3005C 1D724974
	v_mfma_f32_16x16x32_fp8_fp8 v[92:95], a[118:119], a[38:39], v[92:95]// 000000003928: D3F3005C 1D724D76
	buffer_load_dword v69, s[20:23], 0 offen lds               // 000000003930: E0511000 80050045
	s_add_u32 m0, 0xc00, s50                                   // 000000003938: 807C32FF 00000C00
	v_mfma_f32_16x16x32_fp8_fp8 v[120:123], a[120:121], a[32:33], v[120:123]// 000000003940: D3F30078 1DE24178
	v_mfma_f32_16x16x32_fp8_fp8 v[120:123], a[122:123], a[34:35], v[120:123]// 000000003948: D3F30078 1DE2457A
	buffer_load_dword v70, s[20:23], 0 offen lds               // 000000003950: E0511000 80050046
	s_add_u32 m0, 0xd00, s50                                   // 000000003958: 807C32FF 00000D00
	v_mfma_f32_16x16x32_fp8_fp8 v[120:123], a[124:125], a[36:37], v[120:123]// 000000003960: D3F30078 1DE2497C
	v_mfma_f32_16x16x32_fp8_fp8 v[120:123], a[126:127], a[38:39], v[120:123]// 000000003968: D3F30078 1DE24D7E
	buffer_load_dword v71, s[20:23], 0 offen lds               // 000000003970: E0511000 80050047
	s_add_u32 m0, 0, s48                                       // 000000003978: 807C3080
	v_mfma_f32_16x16x32_fp8_fp8 v[96:99], a[112:113], a[40:41], v[96:99]// 00000000397C: D3F30060 1D825170
	v_mfma_f32_16x16x32_fp8_fp8 v[96:99], a[114:115], a[42:43], v[96:99]// 000000003984: D3F30060 1D825572
	v_mfma_f32_16x16x32_fp8_fp8 v[96:99], a[116:117], a[44:45], v[96:99]// 00000000398C: D3F30060 1D825974
	v_mfma_f32_16x16x32_fp8_fp8 v[96:99], a[118:119], a[46:47], v[96:99]// 000000003994: D3F30060 1D825D76
	v_mfma_f32_16x16x32_fp8_fp8 v[124:127], a[120:121], a[40:41], v[124:127]// 00000000399C: D3F3007C 1DF25178
	v_mfma_f32_16x16x32_fp8_fp8 v[124:127], a[122:123], a[42:43], v[124:127]// 0000000039A4: D3F3007C 1DF2557A
	v_mfma_f32_16x16x32_fp8_fp8 v[124:127], a[124:125], a[44:45], v[124:127]// 0000000039AC: D3F3007C 1DF2597C
	v_mfma_f32_16x16x32_fp8_fp8 v[124:127], a[126:127], a[46:47], v[124:127]// 0000000039B4: D3F3007C 1DF25D7E
	v_mfma_f32_16x16x32_fp8_fp8 v[100:103], a[112:113], a[48:49], v[100:103]// 0000000039BC: D3F30064 1D926170
	v_mfma_f32_16x16x32_fp8_fp8 v[100:103], a[114:115], a[50:51], v[100:103]// 0000000039C4: D3F30064 1D926572
	v_mfma_f32_16x16x32_fp8_fp8 v[100:103], a[116:117], a[52:53], v[100:103]// 0000000039CC: D3F30064 1D926974
	v_mfma_f32_16x16x32_fp8_fp8 v[100:103], a[118:119], a[54:55], v[100:103]// 0000000039D4: D3F30064 1D926D76
	v_mfma_f32_16x16x32_fp8_fp8 v[128:131], a[120:121], a[48:49], v[128:131]// 0000000039DC: D3F30080 1E026178
	v_mfma_f32_16x16x32_fp8_fp8 v[128:131], a[122:123], a[50:51], v[128:131]// 0000000039E4: D3F30080 1E02657A
	v_mfma_f32_16x16x32_fp8_fp8 v[128:131], a[124:125], a[52:53], v[128:131]// 0000000039EC: D3F30080 1E02697C
	v_mfma_f32_16x16x32_fp8_fp8 v[128:131], a[126:127], a[54:55], v[128:131]// 0000000039F4: D3F30080 1E026D7E
	s_waitcnt vmcnt(18)                                        // 0000000039FC: BF8C4F72
	s_barrier                                                  // 000000003A00: BF8A0000
	v_mfma_f32_16x16x32_fp8_fp8 v[132:135], a[128:129], a[0:1], v[132:135]// 000000003A04: D3F30084 1E120180
	v_mfma_f32_16x16x32_fp8_fp8 v[132:135], a[130:131], a[2:3], v[132:135]// 000000003A0C: D3F30084 1E120582
	buffer_load_dwordx4 a[112:115], v72, s[84:87], 0 offen     // 000000003A14: E05C1000 80957048
	v_mfma_f32_16x16x32_fp8_fp8 v[132:135], a[132:133], a[4:5], v[132:135]// 000000003A1C: D3F30084 1E120984
	v_mfma_f32_16x16x32_fp8_fp8 v[132:135], a[134:135], a[6:7], v[132:135]// 000000003A24: D3F30084 1E120D86
	ds_read_b128 a[56:59], v2 offset:14464                     // 000000003A2C: DBFE3880 38000002
	ds_read_b128 a[60:63], v2 offset:14528                     // 000000003A34: DBFE38C0 3C000002
	v_mfma_f32_16x16x32_fp8_fp8 v[160:163], a[136:137], a[0:1], v[160:163]// 000000003A3C: D3F300A0 1E820188
	v_mfma_f32_16x16x32_fp8_fp8 v[160:163], a[138:139], a[2:3], v[160:163]// 000000003A44: D3F300A0 1E82058A
	buffer_load_dwordx4 a[116:119], v72, s[84:87], 0 offen offset:1024// 000000003A4C: E05C1400 80957448
	v_mfma_f32_16x16x32_fp8_fp8 v[160:163], a[140:141], a[4:5], v[160:163]// 000000003A54: D3F300A0 1E82098C
	v_mfma_f32_16x16x32_fp8_fp8 v[160:163], a[142:143], a[6:7], v[160:163]// 000000003A5C: D3F300A0 1E820D8E
	ds_read_b128 a[64:67], v2 offset:14976                     // 000000003A64: DBFE3A80 40000002
	ds_read_b128 a[68:71], v2 offset:15040                     // 000000003A6C: DBFE3AC0 44000002
	v_mfma_f32_16x16x32_fp8_fp8 v[136:139], a[128:129], a[8:9], v[136:139]// 000000003A74: D3F30088 1E221180
	v_mfma_f32_16x16x32_fp8_fp8 v[136:139], a[130:131], a[10:11], v[136:139]// 000000003A7C: D3F30088 1E221582
	buffer_load_dwordx4 a[120:123], v73, s[84:87], 0 offen     // 000000003A84: E05C1000 80957849
	v_mfma_f32_16x16x32_fp8_fp8 v[136:139], a[132:133], a[12:13], v[136:139]// 000000003A8C: D3F30088 1E221984
	v_mfma_f32_16x16x32_fp8_fp8 v[136:139], a[134:135], a[14:15], v[136:139]// 000000003A94: D3F30088 1E221D86
	ds_read_b128 a[72:75], v2 offset:15488                     // 000000003A9C: DBFE3C80 48000002
	ds_read_b128 a[76:79], v2 offset:15552                     // 000000003AA4: DBFE3CC0 4C000002
	v_mfma_f32_16x16x32_fp8_fp8 v[164:167], a[136:137], a[8:9], v[164:167]// 000000003AAC: D3F300A4 1E921188
	v_mfma_f32_16x16x32_fp8_fp8 v[164:167], a[138:139], a[10:11], v[164:167]// 000000003AB4: D3F300A4 1E92158A
	buffer_load_dwordx4 a[124:127], v73, s[84:87], 0 offen offset:1024// 000000003ABC: E05C1400 80957C49
	v_mfma_f32_16x16x32_fp8_fp8 v[164:167], a[140:141], a[12:13], v[164:167]// 000000003AC4: D3F300A4 1E92198C
	v_mfma_f32_16x16x32_fp8_fp8 v[164:167], a[142:143], a[14:15], v[164:167]// 000000003ACC: D3F300A4 1E921D8E
	ds_read_b128 a[80:83], v2 offset:16000                     // 000000003AD4: DBFE3E80 50000002
	ds_read_b128 a[84:87], v2 offset:16064                     // 000000003ADC: DBFE3EC0 54000002
	v_mfma_f32_16x16x32_fp8_fp8 v[140:143], a[128:129], a[16:17], v[140:143]// 000000003AE4: D3F3008C 1E322180
	v_mfma_f32_16x16x32_fp8_fp8 v[140:143], a[130:131], a[18:19], v[140:143]// 000000003AEC: D3F3008C 1E322582
	v_mfma_f32_16x16x32_fp8_fp8 v[140:143], a[132:133], a[20:21], v[140:143]// 000000003AF4: D3F3008C 1E322984
	v_mfma_f32_16x16x32_fp8_fp8 v[140:143], a[134:135], a[22:23], v[140:143]// 000000003AFC: D3F3008C 1E322D86
	ds_read_b128 a[88:91], v2 offset:16512                     // 000000003B04: DBFE4080 58000002
	ds_read_b128 a[92:95], v2 offset:16576                     // 000000003B0C: DBFE40C0 5C000002
	v_mfma_f32_16x16x32_fp8_fp8 v[168:171], a[136:137], a[16:17], v[168:171]// 000000003B14: D3F300A8 1EA22188
	v_mfma_f32_16x16x32_fp8_fp8 v[168:171], a[138:139], a[18:19], v[168:171]// 000000003B1C: D3F300A8 1EA2258A
	v_mfma_f32_16x16x32_fp8_fp8 v[168:171], a[140:141], a[20:21], v[168:171]// 000000003B24: D3F300A8 1EA2298C
	v_mfma_f32_16x16x32_fp8_fp8 v[168:171], a[142:143], a[22:23], v[168:171]// 000000003B2C: D3F300A8 1EA22D8E
	ds_read_b128 a[96:99], v2 offset:17024                     // 000000003B34: DBFE4280 60000002
	ds_read_b128 a[100:103], v2 offset:17088                   // 000000003B3C: DBFE42C0 64000002
	v_mfma_f32_16x16x32_fp8_fp8 v[144:147], a[128:129], a[24:25], v[144:147]// 000000003B44: D3F30090 1E423180
	v_mfma_f32_16x16x32_fp8_fp8 v[144:147], a[130:131], a[26:27], v[144:147]// 000000003B4C: D3F30090 1E423582
	v_mfma_f32_16x16x32_fp8_fp8 v[144:147], a[132:133], a[28:29], v[144:147]// 000000003B54: D3F30090 1E423984
	v_mfma_f32_16x16x32_fp8_fp8 v[144:147], a[134:135], a[30:31], v[144:147]// 000000003B5C: D3F30090 1E423D86
	ds_read_b128 a[104:107], v2 offset:17536                   // 000000003B64: DBFE4480 68000002
	ds_read_b128 a[108:111], v2 offset:17600                   // 000000003B6C: DBFE44C0 6C000002
	v_mfma_f32_16x16x32_fp8_fp8 v[172:175], a[136:137], a[24:25], v[172:175]// 000000003B74: D3F300AC 1EB23188
	v_mfma_f32_16x16x32_fp8_fp8 v[172:175], a[138:139], a[26:27], v[172:175]// 000000003B7C: D3F300AC 1EB2358A
	v_mfma_f32_16x16x32_fp8_fp8 v[172:175], a[140:141], a[28:29], v[172:175]// 000000003B84: D3F300AC 1EB2398C
	v_mfma_f32_16x16x32_fp8_fp8 v[172:175], a[142:143], a[30:31], v[172:175]// 000000003B8C: D3F300AC 1EB23D8E
	v_mfma_f32_16x16x32_fp8_fp8 v[148:151], a[128:129], a[32:33], v[148:151]// 000000003B94: D3F30094 1E524180
	v_mfma_f32_16x16x32_fp8_fp8 v[148:151], a[130:131], a[34:35], v[148:151]// 000000003B9C: D3F30094 1E524582
	v_mfma_f32_16x16x32_fp8_fp8 v[148:151], a[132:133], a[36:37], v[148:151]// 000000003BA4: D3F30094 1E524984
	v_mfma_f32_16x16x32_fp8_fp8 v[148:151], a[134:135], a[38:39], v[148:151]// 000000003BAC: D3F30094 1E524D86
	v_mfma_f32_16x16x32_fp8_fp8 v[176:179], a[136:137], a[32:33], v[176:179]// 000000003BB4: D3F300B0 1EC24188
	v_mfma_f32_16x16x32_fp8_fp8 v[176:179], a[138:139], a[34:35], v[176:179]// 000000003BBC: D3F300B0 1EC2458A
	v_mfma_f32_16x16x32_fp8_fp8 v[176:179], a[140:141], a[36:37], v[176:179]// 000000003BC4: D3F300B0 1EC2498C
	v_mfma_f32_16x16x32_fp8_fp8 v[176:179], a[142:143], a[38:39], v[176:179]// 000000003BCC: D3F300B0 1EC24D8E
	v_mfma_f32_16x16x32_fp8_fp8 v[152:155], a[128:129], a[40:41], v[152:155]// 000000003BD4: D3F30098 1E625180
	v_mfma_f32_16x16x32_fp8_fp8 v[152:155], a[130:131], a[42:43], v[152:155]// 000000003BDC: D3F30098 1E625582
	v_mfma_f32_16x16x32_fp8_fp8 v[152:155], a[132:133], a[44:45], v[152:155]// 000000003BE4: D3F30098 1E625984
	v_mfma_f32_16x16x32_fp8_fp8 v[152:155], a[134:135], a[46:47], v[152:155]// 000000003BEC: D3F30098 1E625D86
	v_mfma_f32_16x16x32_fp8_fp8 v[180:183], a[136:137], a[40:41], v[180:183]// 000000003BF4: D3F300B4 1ED25188
	v_mfma_f32_16x16x32_fp8_fp8 v[180:183], a[138:139], a[42:43], v[180:183]// 000000003BFC: D3F300B4 1ED2558A
	v_mfma_f32_16x16x32_fp8_fp8 v[180:183], a[140:141], a[44:45], v[180:183]// 000000003C04: D3F300B4 1ED2598C
	v_mfma_f32_16x16x32_fp8_fp8 v[180:183], a[142:143], a[46:47], v[180:183]// 000000003C0C: D3F300B4 1ED25D8E
	v_mfma_f32_16x16x32_fp8_fp8 v[156:159], a[128:129], a[48:49], v[156:159]// 000000003C14: D3F3009C 1E726180
	s_add_u32 s60, 0x180, s80                                  // 000000003C1C: 803C50FF 00000180
	s_cmp_lt_u32 s60, s81                                      // 000000003C24: BF0A513C
	s_cselect_b32 s57, s57, 0                                  // 000000003C28: 85398039
	v_mfma_f32_16x16x32_fp8_fp8 v[156:159], a[130:131], a[50:51], v[156:159]// 000000003C2C: D3F3009C 1E726582
	s_add_u32 s60, 0x100, s80                                  // 000000003C34: 803C50FF 00000100
	s_cmp_lt_u32 s60, s81                                      // 000000003C3C: BF0A513C
	s_cselect_b32 s58, s58, 0                                  // 000000003C40: 853A803A
	v_mfma_f32_16x16x32_fp8_fp8 v[156:159], a[132:133], a[52:53], v[156:159]// 000000003C44: D3F3009C 1E726984
	s_add_u32 s60, 0x100, s80                                  // 000000003C4C: 803C50FF 00000100
	s_cmp_lt_u32 s60, s81                                      // 000000003C54: BF0A513C
	s_cselect_b32 s83, s83, 0                                  // 000000003C58: 85538053
	v_mfma_f32_16x16x32_fp8_fp8 v[156:159], a[134:135], a[54:55], v[156:159]// 000000003C5C: D3F3009C 1E726D86
	s_add_u32 s24, s58, s24                                    // 000000003C64: 8018183A
	s_addc_u32 s25, 0, s25                                     // 000000003C68: 82191980
	v_mfma_f32_16x16x32_fp8_fp8 v[184:187], a[136:137], a[48:49], v[184:187]// 000000003C6C: D3F300B8 1EE26188
	s_add_u32 s20, s57, s20                                    // 000000003C74: 80141439
	s_addc_u32 s21, 0, s21                                     // 000000003C78: 82151580
	v_mfma_f32_16x16x32_fp8_fp8 v[184:187], a[138:139], a[50:51], v[184:187]// 000000003C7C: D3F300B8 1EE2658A
	s_add_u32 s84, s83, s84                                    // 000000003C84: 80545453
	s_addc_u32 s85, 0, s85                                     // 000000003C88: 82555580
	v_mfma_f32_16x16x32_fp8_fp8 v[184:187], a[140:141], a[52:53], v[184:187]// 000000003C8C: D3F300B8 1EE2698C
	v_mfma_f32_16x16x32_fp8_fp8 v[184:187], a[142:143], a[54:55], v[184:187]// 000000003C94: D3F300B8 1EE26D8E
	s_addk_i32 s80, 0x80                                       // 000000003C9C: B7500080
	s_cmp_lt_i32 s80, s81                                      // 000000003CA0: BF045150
	s_cbranch_scc0 label_0B72                                  // 000000003CA4: BF8406C8
	s_waitcnt vmcnt(18) lgkmcnt(0)                             // 000000003CA8: BF8C4072
	v_mfma_f32_16x16x32_fp8_fp8 v[76:79], a[144:145], a[56:57], v[76:79]// 000000003CAC: D3F3004C 1D327190
	v_mfma_f32_16x16x32_fp8_fp8 v[76:79], a[146:147], a[58:59], v[76:79]// 000000003CB4: D3F3004C 1D327592
	buffer_load_dwordx4 a[128:131], v72, s[24:27], 0 offen     // 000000003CBC: E05C1000 80868048
	v_mfma_f32_16x16x32_fp8_fp8 v[76:79], a[148:149], a[60:61], v[76:79]// 000000003CC4: D3F3004C 1D327994
	v_mfma_f32_16x16x32_fp8_fp8 v[76:79], a[150:151], a[62:63], v[76:79]// 000000003CCC: D3F3004C 1D327D96
	v_mfma_f32_16x16x32_fp8_fp8 v[104:107], a[152:153], a[56:57], v[104:107]// 000000003CD4: D3F30068 1DA27198
	v_mfma_f32_16x16x32_fp8_fp8 v[104:107], a[154:155], a[58:59], v[104:107]// 000000003CDC: D3F30068 1DA2759A
	buffer_load_dwordx4 a[132:135], v72, s[24:27], 0 offen offset:1024// 000000003CE4: E05C1400 80868448
	v_mfma_f32_16x16x32_fp8_fp8 v[104:107], a[156:157], a[60:61], v[104:107]// 000000003CEC: D3F30068 1DA2799C
	v_mfma_f32_16x16x32_fp8_fp8 v[104:107], a[158:159], a[62:63], v[104:107]// 000000003CF4: D3F30068 1DA27D9E
	v_mfma_f32_16x16x32_fp8_fp8 v[80:83], a[144:145], a[64:65], v[80:83]// 000000003CFC: D3F30050 1D428190
	v_mfma_f32_16x16x32_fp8_fp8 v[80:83], a[146:147], a[66:67], v[80:83]// 000000003D04: D3F30050 1D428592
	buffer_load_dwordx4 a[136:139], v73, s[24:27], 0 offen     // 000000003D0C: E05C1000 80868849
	v_mfma_f32_16x16x32_fp8_fp8 v[80:83], a[148:149], a[68:69], v[80:83]// 000000003D14: D3F30050 1D428994
	v_mfma_f32_16x16x32_fp8_fp8 v[80:83], a[150:151], a[70:71], v[80:83]// 000000003D1C: D3F30050 1D428D96
	v_mfma_f32_16x16x32_fp8_fp8 v[108:111], a[152:153], a[64:65], v[108:111]// 000000003D24: D3F3006C 1DB28198
	v_mfma_f32_16x16x32_fp8_fp8 v[108:111], a[154:155], a[66:67], v[108:111]// 000000003D2C: D3F3006C 1DB2859A
	buffer_load_dwordx4 a[140:143], v73, s[24:27], 0 offen offset:1024// 000000003D34: E05C1400 80868C49
	buffer_load_dword v58, s[20:23], 0 offen lds               // 000000003D3C: E0511000 8005003A
	s_add_u32 m0, 0x100, s48                                   // 000000003D44: 807C30FF 00000100
	v_mfma_f32_16x16x32_fp8_fp8 v[108:111], a[156:157], a[68:69], v[108:111]// 000000003D4C: D3F3006C 1DB2899C
	v_mfma_f32_16x16x32_fp8_fp8 v[108:111], a[158:159], a[70:71], v[108:111]// 000000003D54: D3F3006C 1DB28D9E
	buffer_load_dword v59, s[20:23], 0 offen lds               // 000000003D5C: E0511000 8005003B
	s_add_u32 m0, 0x200, s48                                   // 000000003D64: 807C30FF 00000200
	v_mfma_f32_16x16x32_fp8_fp8 v[84:87], a[144:145], a[72:73], v[84:87]// 000000003D6C: D3F30054 1D529190
	v_mfma_f32_16x16x32_fp8_fp8 v[84:87], a[146:147], a[74:75], v[84:87]// 000000003D74: D3F30054 1D529592
	buffer_load_dword v60, s[20:23], 0 offen lds               // 000000003D7C: E0511000 8005003C
	s_add_u32 m0, 0x300, s48                                   // 000000003D84: 807C30FF 00000300
	v_mfma_f32_16x16x32_fp8_fp8 v[84:87], a[148:149], a[76:77], v[84:87]// 000000003D8C: D3F30054 1D529994
	v_mfma_f32_16x16x32_fp8_fp8 v[84:87], a[150:151], a[78:79], v[84:87]// 000000003D94: D3F30054 1D529D96
	buffer_load_dword v61, s[20:23], 0 offen lds               // 000000003D9C: E0511000 8005003D
	s_add_u32 m0, 0x400, s48                                   // 000000003DA4: 807C30FF 00000400
	v_mfma_f32_16x16x32_fp8_fp8 v[112:115], a[152:153], a[72:73], v[112:115]// 000000003DAC: D3F30070 1DC29198
	v_mfma_f32_16x16x32_fp8_fp8 v[112:115], a[154:155], a[74:75], v[112:115]// 000000003DB4: D3F30070 1DC2959A
	buffer_load_dword v62, s[20:23], 0 offen lds               // 000000003DBC: E0511000 8005003E
	s_add_u32 m0, 0x500, s48                                   // 000000003DC4: 807C30FF 00000500
	v_mfma_f32_16x16x32_fp8_fp8 v[112:115], a[156:157], a[76:77], v[112:115]// 000000003DCC: D3F30070 1DC2999C
	v_mfma_f32_16x16x32_fp8_fp8 v[112:115], a[158:159], a[78:79], v[112:115]// 000000003DD4: D3F30070 1DC29D9E
	buffer_load_dword v63, s[20:23], 0 offen lds               // 000000003DDC: E0511000 8005003F
	s_add_u32 m0, 0x600, s48                                   // 000000003DE4: 807C30FF 00000600
	v_mfma_f32_16x16x32_fp8_fp8 v[88:91], a[144:145], a[80:81], v[88:91]// 000000003DEC: D3F30058 1D62A190
	v_mfma_f32_16x16x32_fp8_fp8 v[88:91], a[146:147], a[82:83], v[88:91]// 000000003DF4: D3F30058 1D62A592
	buffer_load_dword v64, s[20:23], 0 offen lds               // 000000003DFC: E0511000 80050040
	s_add_u32 m0, 0x700, s48                                   // 000000003E04: 807C30FF 00000700
	v_mfma_f32_16x16x32_fp8_fp8 v[88:91], a[148:149], a[84:85], v[88:91]// 000000003E0C: D3F30058 1D62A994
	v_mfma_f32_16x16x32_fp8_fp8 v[88:91], a[150:151], a[86:87], v[88:91]// 000000003E14: D3F30058 1D62AD96
	buffer_load_dword v65, s[20:23], 0 offen lds               // 000000003E1C: E0511000 80050041
	s_add_u32 m0, 0x800, s48                                   // 000000003E24: 807C30FF 00000800
	v_mfma_f32_16x16x32_fp8_fp8 v[116:119], a[152:153], a[80:81], v[116:119]// 000000003E2C: D3F30074 1DD2A198
	v_mfma_f32_16x16x32_fp8_fp8 v[116:119], a[154:155], a[82:83], v[116:119]// 000000003E34: D3F30074 1DD2A59A
	buffer_load_dword v66, s[20:23], 0 offen lds               // 000000003E3C: E0511000 80050042
	s_add_u32 m0, 0x900, s48                                   // 000000003E44: 807C30FF 00000900
	v_mfma_f32_16x16x32_fp8_fp8 v[116:119], a[156:157], a[84:85], v[116:119]// 000000003E4C: D3F30074 1DD2A99C
	v_mfma_f32_16x16x32_fp8_fp8 v[116:119], a[158:159], a[86:87], v[116:119]// 000000003E54: D3F30074 1DD2AD9E
	buffer_load_dword v67, s[20:23], 0 offen lds               // 000000003E5C: E0511000 80050043
	s_add_u32 m0, 0xa00, s48                                   // 000000003E64: 807C30FF 00000A00
	v_mfma_f32_16x16x32_fp8_fp8 v[92:95], a[144:145], a[88:89], v[92:95]// 000000003E6C: D3F3005C 1D72B190
	v_mfma_f32_16x16x32_fp8_fp8 v[92:95], a[146:147], a[90:91], v[92:95]// 000000003E74: D3F3005C 1D72B592
	buffer_load_dword v68, s[20:23], 0 offen lds               // 000000003E7C: E0511000 80050044
	s_add_u32 m0, 0xb00, s48                                   // 000000003E84: 807C30FF 00000B00
	v_mfma_f32_16x16x32_fp8_fp8 v[92:95], a[148:149], a[92:93], v[92:95]// 000000003E8C: D3F3005C 1D72B994
	v_mfma_f32_16x16x32_fp8_fp8 v[92:95], a[150:151], a[94:95], v[92:95]// 000000003E94: D3F3005C 1D72BD96
	buffer_load_dword v69, s[20:23], 0 offen lds               // 000000003E9C: E0511000 80050045
	s_add_u32 m0, 0xc00, s48                                   // 000000003EA4: 807C30FF 00000C00
	v_mfma_f32_16x16x32_fp8_fp8 v[120:123], a[152:153], a[88:89], v[120:123]// 000000003EAC: D3F30078 1DE2B198
	v_mfma_f32_16x16x32_fp8_fp8 v[120:123], a[154:155], a[90:91], v[120:123]// 000000003EB4: D3F30078 1DE2B59A
	buffer_load_dword v70, s[20:23], 0 offen lds               // 000000003EBC: E0511000 80050046
	s_add_u32 m0, 0xd00, s48                                   // 000000003EC4: 807C30FF 00000D00
	v_mfma_f32_16x16x32_fp8_fp8 v[120:123], a[156:157], a[92:93], v[120:123]// 000000003ECC: D3F30078 1DE2B99C
	v_mfma_f32_16x16x32_fp8_fp8 v[120:123], a[158:159], a[94:95], v[120:123]// 000000003ED4: D3F30078 1DE2BD9E
	buffer_load_dword v71, s[20:23], 0 offen lds               // 000000003EDC: E0511000 80050047
	s_add_u32 m0, 0, s49                                       // 000000003EE4: 807C3180
	v_mfma_f32_16x16x32_fp8_fp8 v[96:99], a[144:145], a[96:97], v[96:99]// 000000003EE8: D3F30060 1D82C190
	v_mfma_f32_16x16x32_fp8_fp8 v[96:99], a[146:147], a[98:99], v[96:99]// 000000003EF0: D3F30060 1D82C592
	v_mfma_f32_16x16x32_fp8_fp8 v[96:99], a[148:149], a[100:101], v[96:99]// 000000003EF8: D3F30060 1D82C994
	v_mfma_f32_16x16x32_fp8_fp8 v[96:99], a[150:151], a[102:103], v[96:99]// 000000003F00: D3F30060 1D82CD96
	v_mfma_f32_16x16x32_fp8_fp8 v[124:127], a[152:153], a[96:97], v[124:127]// 000000003F08: D3F3007C 1DF2C198
	v_mfma_f32_16x16x32_fp8_fp8 v[124:127], a[154:155], a[98:99], v[124:127]// 000000003F10: D3F3007C 1DF2C59A
	v_mfma_f32_16x16x32_fp8_fp8 v[124:127], a[156:157], a[100:101], v[124:127]// 000000003F18: D3F3007C 1DF2C99C
	v_mfma_f32_16x16x32_fp8_fp8 v[124:127], a[158:159], a[102:103], v[124:127]// 000000003F20: D3F3007C 1DF2CD9E
	v_mfma_f32_16x16x32_fp8_fp8 v[100:103], a[144:145], a[104:105], v[100:103]// 000000003F28: D3F30064 1D92D190
	v_mfma_f32_16x16x32_fp8_fp8 v[100:103], a[146:147], a[106:107], v[100:103]// 000000003F30: D3F30064 1D92D592
	v_mfma_f32_16x16x32_fp8_fp8 v[100:103], a[148:149], a[108:109], v[100:103]// 000000003F38: D3F30064 1D92D994
	v_mfma_f32_16x16x32_fp8_fp8 v[100:103], a[150:151], a[110:111], v[100:103]// 000000003F40: D3F30064 1D92DD96
	v_mfma_f32_16x16x32_fp8_fp8 v[128:131], a[152:153], a[104:105], v[128:131]// 000000003F48: D3F30080 1E02D198
	v_mfma_f32_16x16x32_fp8_fp8 v[128:131], a[154:155], a[106:107], v[128:131]// 000000003F50: D3F30080 1E02D59A
	v_mfma_f32_16x16x32_fp8_fp8 v[128:131], a[156:157], a[108:109], v[128:131]// 000000003F58: D3F30080 1E02D99C
	v_mfma_f32_16x16x32_fp8_fp8 v[128:131], a[158:159], a[110:111], v[128:131]// 000000003F60: D3F30080 1E02DD9E
	s_waitcnt vmcnt(18)                                        // 000000003F68: BF8C4F72
	s_barrier                                                  // 000000003F6C: BF8A0000
	v_mfma_f32_16x16x32_fp8_fp8 v[132:135], a[112:113], a[56:57], v[132:135]// 000000003F70: D3F30084 1E127170
	v_mfma_f32_16x16x32_fp8_fp8 v[132:135], a[114:115], a[58:59], v[132:135]// 000000003F78: D3F30084 1E127572
	buffer_load_dwordx4 a[144:147], v72, s[84:87], 0 offen     // 000000003F80: E05C1000 80959048
	v_mfma_f32_16x16x32_fp8_fp8 v[132:135], a[116:117], a[60:61], v[132:135]// 000000003F88: D3F30084 1E127974
	v_mfma_f32_16x16x32_fp8_fp8 v[132:135], a[118:119], a[62:63], v[132:135]// 000000003F90: D3F30084 1E127D76
	ds_read_b128 a[0:3], v2 offset:28928                       // 000000003F98: DBFE7100 00000002
	ds_read_b128 a[4:7], v2 offset:28992                       // 000000003FA0: DBFE7140 04000002
	v_mfma_f32_16x16x32_fp8_fp8 v[160:163], a[120:121], a[56:57], v[160:163]// 000000003FA8: D3F300A0 1E827178
	v_mfma_f32_16x16x32_fp8_fp8 v[160:163], a[122:123], a[58:59], v[160:163]// 000000003FB0: D3F300A0 1E82757A
	buffer_load_dwordx4 a[148:151], v72, s[84:87], 0 offen offset:1024// 000000003FB8: E05C1400 80959448
	v_mfma_f32_16x16x32_fp8_fp8 v[160:163], a[124:125], a[60:61], v[160:163]// 000000003FC0: D3F300A0 1E82797C
	v_mfma_f32_16x16x32_fp8_fp8 v[160:163], a[126:127], a[62:63], v[160:163]// 000000003FC8: D3F300A0 1E827D7E
	ds_read_b128 a[8:11], v2 offset:29440                      // 000000003FD0: DBFE7300 08000002
	ds_read_b128 a[12:15], v2 offset:29504                     // 000000003FD8: DBFE7340 0C000002
	v_mfma_f32_16x16x32_fp8_fp8 v[136:139], a[112:113], a[64:65], v[136:139]// 000000003FE0: D3F30088 1E228170
	v_mfma_f32_16x16x32_fp8_fp8 v[136:139], a[114:115], a[66:67], v[136:139]// 000000003FE8: D3F30088 1E228572
	buffer_load_dwordx4 a[152:155], v73, s[84:87], 0 offen     // 000000003FF0: E05C1000 80959849
	v_mfma_f32_16x16x32_fp8_fp8 v[136:139], a[116:117], a[68:69], v[136:139]// 000000003FF8: D3F30088 1E228974
	v_mfma_f32_16x16x32_fp8_fp8 v[136:139], a[118:119], a[70:71], v[136:139]// 000000004000: D3F30088 1E228D76
	ds_read_b128 a[16:19], v2 offset:29952                     // 000000004008: DBFE7500 10000002
	ds_read_b128 a[20:23], v2 offset:30016                     // 000000004010: DBFE7540 14000002
	v_mfma_f32_16x16x32_fp8_fp8 v[164:167], a[120:121], a[64:65], v[164:167]// 000000004018: D3F300A4 1E928178
	v_mfma_f32_16x16x32_fp8_fp8 v[164:167], a[122:123], a[66:67], v[164:167]// 000000004020: D3F300A4 1E92857A
	buffer_load_dwordx4 a[156:159], v73, s[84:87], 0 offen offset:1024// 000000004028: E05C1400 80959C49
	v_mfma_f32_16x16x32_fp8_fp8 v[164:167], a[124:125], a[68:69], v[164:167]// 000000004030: D3F300A4 1E92897C
	v_mfma_f32_16x16x32_fp8_fp8 v[164:167], a[126:127], a[70:71], v[164:167]// 000000004038: D3F300A4 1E928D7E
	ds_read_b128 a[24:27], v2 offset:30464                     // 000000004040: DBFE7700 18000002
	ds_read_b128 a[28:31], v2 offset:30528                     // 000000004048: DBFE7740 1C000002
	v_mfma_f32_16x16x32_fp8_fp8 v[140:143], a[112:113], a[72:73], v[140:143]// 000000004050: D3F3008C 1E329170
	v_mfma_f32_16x16x32_fp8_fp8 v[140:143], a[114:115], a[74:75], v[140:143]// 000000004058: D3F3008C 1E329572
	v_mfma_f32_16x16x32_fp8_fp8 v[140:143], a[116:117], a[76:77], v[140:143]// 000000004060: D3F3008C 1E329974
	v_mfma_f32_16x16x32_fp8_fp8 v[140:143], a[118:119], a[78:79], v[140:143]// 000000004068: D3F3008C 1E329D76
	ds_read_b128 a[32:35], v2 offset:30976                     // 000000004070: DBFE7900 20000002
	ds_read_b128 a[36:39], v2 offset:31040                     // 000000004078: DBFE7940 24000002
	v_mfma_f32_16x16x32_fp8_fp8 v[168:171], a[120:121], a[72:73], v[168:171]// 000000004080: D3F300A8 1EA29178
	v_mfma_f32_16x16x32_fp8_fp8 v[168:171], a[122:123], a[74:75], v[168:171]// 000000004088: D3F300A8 1EA2957A
	v_mfma_f32_16x16x32_fp8_fp8 v[168:171], a[124:125], a[76:77], v[168:171]// 000000004090: D3F300A8 1EA2997C
	v_mfma_f32_16x16x32_fp8_fp8 v[168:171], a[126:127], a[78:79], v[168:171]// 000000004098: D3F300A8 1EA29D7E
	ds_read_b128 a[40:43], v2 offset:31488                     // 0000000040A0: DBFE7B00 28000002
	ds_read_b128 a[44:47], v2 offset:31552                     // 0000000040A8: DBFE7B40 2C000002
	v_mfma_f32_16x16x32_fp8_fp8 v[144:147], a[112:113], a[80:81], v[144:147]// 0000000040B0: D3F30090 1E42A170
	v_mfma_f32_16x16x32_fp8_fp8 v[144:147], a[114:115], a[82:83], v[144:147]// 0000000040B8: D3F30090 1E42A572
	v_mfma_f32_16x16x32_fp8_fp8 v[144:147], a[116:117], a[84:85], v[144:147]// 0000000040C0: D3F30090 1E42A974
	v_mfma_f32_16x16x32_fp8_fp8 v[144:147], a[118:119], a[86:87], v[144:147]// 0000000040C8: D3F30090 1E42AD76
	ds_read_b128 a[48:51], v2 offset:32000                     // 0000000040D0: DBFE7D00 30000002
	ds_read_b128 a[52:55], v2 offset:32064                     // 0000000040D8: DBFE7D40 34000002
	v_mfma_f32_16x16x32_fp8_fp8 v[172:175], a[120:121], a[80:81], v[172:175]// 0000000040E0: D3F300AC 1EB2A178
	v_mfma_f32_16x16x32_fp8_fp8 v[172:175], a[122:123], a[82:83], v[172:175]// 0000000040E8: D3F300AC 1EB2A57A
	v_mfma_f32_16x16x32_fp8_fp8 v[172:175], a[124:125], a[84:85], v[172:175]// 0000000040F0: D3F300AC 1EB2A97C
	v_mfma_f32_16x16x32_fp8_fp8 v[172:175], a[126:127], a[86:87], v[172:175]// 0000000040F8: D3F300AC 1EB2AD7E
	v_mfma_f32_16x16x32_fp8_fp8 v[148:151], a[112:113], a[88:89], v[148:151]// 000000004100: D3F30094 1E52B170
	v_mfma_f32_16x16x32_fp8_fp8 v[148:151], a[114:115], a[90:91], v[148:151]// 000000004108: D3F30094 1E52B572
	v_mfma_f32_16x16x32_fp8_fp8 v[148:151], a[116:117], a[92:93], v[148:151]// 000000004110: D3F30094 1E52B974
	v_mfma_f32_16x16x32_fp8_fp8 v[148:151], a[118:119], a[94:95], v[148:151]// 000000004118: D3F30094 1E52BD76
	v_mfma_f32_16x16x32_fp8_fp8 v[176:179], a[120:121], a[88:89], v[176:179]// 000000004120: D3F300B0 1EC2B178
	v_mfma_f32_16x16x32_fp8_fp8 v[176:179], a[122:123], a[90:91], v[176:179]// 000000004128: D3F300B0 1EC2B57A
	v_mfma_f32_16x16x32_fp8_fp8 v[176:179], a[124:125], a[92:93], v[176:179]// 000000004130: D3F300B0 1EC2B97C
	v_mfma_f32_16x16x32_fp8_fp8 v[176:179], a[126:127], a[94:95], v[176:179]// 000000004138: D3F300B0 1EC2BD7E
	v_mfma_f32_16x16x32_fp8_fp8 v[152:155], a[112:113], a[96:97], v[152:155]// 000000004140: D3F30098 1E62C170
	v_mfma_f32_16x16x32_fp8_fp8 v[152:155], a[114:115], a[98:99], v[152:155]// 000000004148: D3F30098 1E62C572
	v_mfma_f32_16x16x32_fp8_fp8 v[152:155], a[116:117], a[100:101], v[152:155]// 000000004150: D3F30098 1E62C974
	v_mfma_f32_16x16x32_fp8_fp8 v[152:155], a[118:119], a[102:103], v[152:155]// 000000004158: D3F30098 1E62CD76
	v_mfma_f32_16x16x32_fp8_fp8 v[180:183], a[120:121], a[96:97], v[180:183]// 000000004160: D3F300B4 1ED2C178
	v_mfma_f32_16x16x32_fp8_fp8 v[180:183], a[122:123], a[98:99], v[180:183]// 000000004168: D3F300B4 1ED2C57A
	v_mfma_f32_16x16x32_fp8_fp8 v[180:183], a[124:125], a[100:101], v[180:183]// 000000004170: D3F300B4 1ED2C97C
	v_mfma_f32_16x16x32_fp8_fp8 v[180:183], a[126:127], a[102:103], v[180:183]// 000000004178: D3F300B4 1ED2CD7E
	v_mfma_f32_16x16x32_fp8_fp8 v[156:159], a[112:113], a[104:105], v[156:159]// 000000004180: D3F3009C 1E72D170
	s_add_u32 s60, 0x180, s80                                  // 000000004188: 803C50FF 00000180
	s_cmp_lt_u32 s60, s81                                      // 000000004190: BF0A513C
	s_cselect_b32 s57, s57, 0                                  // 000000004194: 85398039
	v_mfma_f32_16x16x32_fp8_fp8 v[156:159], a[114:115], a[106:107], v[156:159]// 000000004198: D3F3009C 1E72D572
	s_add_u32 s60, 0x100, s80                                  // 0000000041A0: 803C50FF 00000100
	s_cmp_lt_u32 s60, s81                                      // 0000000041A8: BF0A513C
	s_cselect_b32 s58, s58, 0                                  // 0000000041AC: 853A803A
	v_mfma_f32_16x16x32_fp8_fp8 v[156:159], a[116:117], a[108:109], v[156:159]// 0000000041B0: D3F3009C 1E72D974
	s_add_u32 s60, 0x100, s80                                  // 0000000041B8: 803C50FF 00000100
	s_cmp_lt_u32 s60, s81                                      // 0000000041C0: BF0A513C
	s_cselect_b32 s83, s83, 0                                  // 0000000041C4: 85538053
	v_mfma_f32_16x16x32_fp8_fp8 v[156:159], a[118:119], a[110:111], v[156:159]// 0000000041C8: D3F3009C 1E72DD76
	s_add_u32 s24, s58, s24                                    // 0000000041D0: 8018183A
	s_addc_u32 s25, 0, s25                                     // 0000000041D4: 82191980
	v_mfma_f32_16x16x32_fp8_fp8 v[184:187], a[120:121], a[104:105], v[184:187]// 0000000041D8: D3F300B8 1EE2D178
	s_add_u32 s20, s57, s20                                    // 0000000041E0: 80141439
	s_addc_u32 s21, 0, s21                                     // 0000000041E4: 82151580
	v_mfma_f32_16x16x32_fp8_fp8 v[184:187], a[122:123], a[106:107], v[184:187]// 0000000041E8: D3F300B8 1EE2D57A
	s_add_u32 s84, s83, s84                                    // 0000000041F0: 80545453
	s_addc_u32 s85, 0, s85                                     // 0000000041F4: 82555580
	v_mfma_f32_16x16x32_fp8_fp8 v[184:187], a[124:125], a[108:109], v[184:187]// 0000000041F8: D3F300B8 1EE2D97C
	v_mfma_f32_16x16x32_fp8_fp8 v[184:187], a[126:127], a[110:111], v[184:187]// 000000004200: D3F300B8 1EE2DD7E
	s_addk_i32 s80, 0x80                                       // 000000004208: B7500080
	s_cmp_lt_i32 s80, s81                                      // 00000000420C: BF045150
	s_cbranch_scc0 label_0B72                                  // 000000004210: BF84056D
	s_waitcnt vmcnt(18) lgkmcnt(0)                             // 000000004214: BF8C4072
	v_mfma_f32_16x16x32_fp8_fp8 v[76:79], a[128:129], a[0:1], v[76:79]// 000000004218: D3F3004C 1D320180
	v_mfma_f32_16x16x32_fp8_fp8 v[76:79], a[130:131], a[2:3], v[76:79]// 000000004220: D3F3004C 1D320582
	buffer_load_dwordx4 a[112:115], v72, s[24:27], 0 offen     // 000000004228: E05C1000 80867048
	v_mfma_f32_16x16x32_fp8_fp8 v[76:79], a[132:133], a[4:5], v[76:79]// 000000004230: D3F3004C 1D320984
	v_mfma_f32_16x16x32_fp8_fp8 v[76:79], a[134:135], a[6:7], v[76:79]// 000000004238: D3F3004C 1D320D86
	v_mfma_f32_16x16x32_fp8_fp8 v[104:107], a[136:137], a[0:1], v[104:107]// 000000004240: D3F30068 1DA20188
	v_mfma_f32_16x16x32_fp8_fp8 v[104:107], a[138:139], a[2:3], v[104:107]// 000000004248: D3F30068 1DA2058A
	buffer_load_dwordx4 a[116:119], v72, s[24:27], 0 offen offset:1024// 000000004250: E05C1400 80867448
	v_mfma_f32_16x16x32_fp8_fp8 v[104:107], a[140:141], a[4:5], v[104:107]// 000000004258: D3F30068 1DA2098C
	v_mfma_f32_16x16x32_fp8_fp8 v[104:107], a[142:143], a[6:7], v[104:107]// 000000004260: D3F30068 1DA20D8E
	v_mfma_f32_16x16x32_fp8_fp8 v[80:83], a[128:129], a[8:9], v[80:83]// 000000004268: D3F30050 1D421180
	v_mfma_f32_16x16x32_fp8_fp8 v[80:83], a[130:131], a[10:11], v[80:83]// 000000004270: D3F30050 1D421582
	buffer_load_dwordx4 a[120:123], v73, s[24:27], 0 offen     // 000000004278: E05C1000 80867849
	v_mfma_f32_16x16x32_fp8_fp8 v[80:83], a[132:133], a[12:13], v[80:83]// 000000004280: D3F30050 1D421984
	v_mfma_f32_16x16x32_fp8_fp8 v[80:83], a[134:135], a[14:15], v[80:83]// 000000004288: D3F30050 1D421D86
	v_mfma_f32_16x16x32_fp8_fp8 v[108:111], a[136:137], a[8:9], v[108:111]// 000000004290: D3F3006C 1DB21188
	v_mfma_f32_16x16x32_fp8_fp8 v[108:111], a[138:139], a[10:11], v[108:111]// 000000004298: D3F3006C 1DB2158A
	buffer_load_dwordx4 a[124:127], v73, s[24:27], 0 offen offset:1024// 0000000042A0: E05C1400 80867C49
	buffer_load_dword v58, s[20:23], 0 offen lds               // 0000000042A8: E0511000 8005003A
	s_add_u32 m0, 0x100, s49                                   // 0000000042B0: 807C31FF 00000100
	v_mfma_f32_16x16x32_fp8_fp8 v[108:111], a[140:141], a[12:13], v[108:111]// 0000000042B8: D3F3006C 1DB2198C
	v_mfma_f32_16x16x32_fp8_fp8 v[108:111], a[142:143], a[14:15], v[108:111]// 0000000042C0: D3F3006C 1DB21D8E
	buffer_load_dword v59, s[20:23], 0 offen lds               // 0000000042C8: E0511000 8005003B
	s_add_u32 m0, 0x200, s49                                   // 0000000042D0: 807C31FF 00000200
	v_mfma_f32_16x16x32_fp8_fp8 v[84:87], a[128:129], a[16:17], v[84:87]// 0000000042D8: D3F30054 1D522180
	v_mfma_f32_16x16x32_fp8_fp8 v[84:87], a[130:131], a[18:19], v[84:87]// 0000000042E0: D3F30054 1D522582
	buffer_load_dword v60, s[20:23], 0 offen lds               // 0000000042E8: E0511000 8005003C
	s_add_u32 m0, 0x300, s49                                   // 0000000042F0: 807C31FF 00000300
	v_mfma_f32_16x16x32_fp8_fp8 v[84:87], a[132:133], a[20:21], v[84:87]// 0000000042F8: D3F30054 1D522984
	v_mfma_f32_16x16x32_fp8_fp8 v[84:87], a[134:135], a[22:23], v[84:87]// 000000004300: D3F30054 1D522D86
	buffer_load_dword v61, s[20:23], 0 offen lds               // 000000004308: E0511000 8005003D
	s_add_u32 m0, 0x400, s49                                   // 000000004310: 807C31FF 00000400
	v_mfma_f32_16x16x32_fp8_fp8 v[112:115], a[136:137], a[16:17], v[112:115]// 000000004318: D3F30070 1DC22188
	v_mfma_f32_16x16x32_fp8_fp8 v[112:115], a[138:139], a[18:19], v[112:115]// 000000004320: D3F30070 1DC2258A
	buffer_load_dword v62, s[20:23], 0 offen lds               // 000000004328: E0511000 8005003E
	s_add_u32 m0, 0x500, s49                                   // 000000004330: 807C31FF 00000500
	v_mfma_f32_16x16x32_fp8_fp8 v[112:115], a[140:141], a[20:21], v[112:115]// 000000004338: D3F30070 1DC2298C
	v_mfma_f32_16x16x32_fp8_fp8 v[112:115], a[142:143], a[22:23], v[112:115]// 000000004340: D3F30070 1DC22D8E
	buffer_load_dword v63, s[20:23], 0 offen lds               // 000000004348: E0511000 8005003F
	s_add_u32 m0, 0x600, s49                                   // 000000004350: 807C31FF 00000600
	v_mfma_f32_16x16x32_fp8_fp8 v[88:91], a[128:129], a[24:25], v[88:91]// 000000004358: D3F30058 1D623180
	v_mfma_f32_16x16x32_fp8_fp8 v[88:91], a[130:131], a[26:27], v[88:91]// 000000004360: D3F30058 1D623582
	buffer_load_dword v64, s[20:23], 0 offen lds               // 000000004368: E0511000 80050040
	s_add_u32 m0, 0x700, s49                                   // 000000004370: 807C31FF 00000700
	v_mfma_f32_16x16x32_fp8_fp8 v[88:91], a[132:133], a[28:29], v[88:91]// 000000004378: D3F30058 1D623984
	v_mfma_f32_16x16x32_fp8_fp8 v[88:91], a[134:135], a[30:31], v[88:91]// 000000004380: D3F30058 1D623D86
	buffer_load_dword v65, s[20:23], 0 offen lds               // 000000004388: E0511000 80050041
	s_add_u32 m0, 0x800, s49                                   // 000000004390: 807C31FF 00000800
	v_mfma_f32_16x16x32_fp8_fp8 v[116:119], a[136:137], a[24:25], v[116:119]// 000000004398: D3F30074 1DD23188
	v_mfma_f32_16x16x32_fp8_fp8 v[116:119], a[138:139], a[26:27], v[116:119]// 0000000043A0: D3F30074 1DD2358A
	buffer_load_dword v66, s[20:23], 0 offen lds               // 0000000043A8: E0511000 80050042
	s_add_u32 m0, 0x900, s49                                   // 0000000043B0: 807C31FF 00000900
	v_mfma_f32_16x16x32_fp8_fp8 v[116:119], a[140:141], a[28:29], v[116:119]// 0000000043B8: D3F30074 1DD2398C
	v_mfma_f32_16x16x32_fp8_fp8 v[116:119], a[142:143], a[30:31], v[116:119]// 0000000043C0: D3F30074 1DD23D8E
	buffer_load_dword v67, s[20:23], 0 offen lds               // 0000000043C8: E0511000 80050043
	s_add_u32 m0, 0xa00, s49                                   // 0000000043D0: 807C31FF 00000A00
	v_mfma_f32_16x16x32_fp8_fp8 v[92:95], a[128:129], a[32:33], v[92:95]// 0000000043D8: D3F3005C 1D724180
	v_mfma_f32_16x16x32_fp8_fp8 v[92:95], a[130:131], a[34:35], v[92:95]// 0000000043E0: D3F3005C 1D724582
	buffer_load_dword v68, s[20:23], 0 offen lds               // 0000000043E8: E0511000 80050044
	s_add_u32 m0, 0xb00, s49                                   // 0000000043F0: 807C31FF 00000B00
	v_mfma_f32_16x16x32_fp8_fp8 v[92:95], a[132:133], a[36:37], v[92:95]// 0000000043F8: D3F3005C 1D724984
	v_mfma_f32_16x16x32_fp8_fp8 v[92:95], a[134:135], a[38:39], v[92:95]// 000000004400: D3F3005C 1D724D86
	buffer_load_dword v69, s[20:23], 0 offen lds               // 000000004408: E0511000 80050045
	s_add_u32 m0, 0xc00, s49                                   // 000000004410: 807C31FF 00000C00
	v_mfma_f32_16x16x32_fp8_fp8 v[120:123], a[136:137], a[32:33], v[120:123]// 000000004418: D3F30078 1DE24188
	v_mfma_f32_16x16x32_fp8_fp8 v[120:123], a[138:139], a[34:35], v[120:123]// 000000004420: D3F30078 1DE2458A
	buffer_load_dword v70, s[20:23], 0 offen lds               // 000000004428: E0511000 80050046
	s_add_u32 m0, 0xd00, s49                                   // 000000004430: 807C31FF 00000D00
	v_mfma_f32_16x16x32_fp8_fp8 v[120:123], a[140:141], a[36:37], v[120:123]// 000000004438: D3F30078 1DE2498C
	v_mfma_f32_16x16x32_fp8_fp8 v[120:123], a[142:143], a[38:39], v[120:123]// 000000004440: D3F30078 1DE24D8E
	buffer_load_dword v71, s[20:23], 0 offen lds               // 000000004448: E0511000 80050047
	s_add_u32 m0, 0, s50                                       // 000000004450: 807C3280
	v_mfma_f32_16x16x32_fp8_fp8 v[96:99], a[128:129], a[40:41], v[96:99]// 000000004454: D3F30060 1D825180
	v_mfma_f32_16x16x32_fp8_fp8 v[96:99], a[130:131], a[42:43], v[96:99]// 00000000445C: D3F30060 1D825582
	v_mfma_f32_16x16x32_fp8_fp8 v[96:99], a[132:133], a[44:45], v[96:99]// 000000004464: D3F30060 1D825984
	v_mfma_f32_16x16x32_fp8_fp8 v[96:99], a[134:135], a[46:47], v[96:99]// 00000000446C: D3F30060 1D825D86
	v_mfma_f32_16x16x32_fp8_fp8 v[124:127], a[136:137], a[40:41], v[124:127]// 000000004474: D3F3007C 1DF25188
	v_mfma_f32_16x16x32_fp8_fp8 v[124:127], a[138:139], a[42:43], v[124:127]// 00000000447C: D3F3007C 1DF2558A
	v_mfma_f32_16x16x32_fp8_fp8 v[124:127], a[140:141], a[44:45], v[124:127]// 000000004484: D3F3007C 1DF2598C
	v_mfma_f32_16x16x32_fp8_fp8 v[124:127], a[142:143], a[46:47], v[124:127]// 00000000448C: D3F3007C 1DF25D8E
	v_mfma_f32_16x16x32_fp8_fp8 v[100:103], a[128:129], a[48:49], v[100:103]// 000000004494: D3F30064 1D926180
	v_mfma_f32_16x16x32_fp8_fp8 v[100:103], a[130:131], a[50:51], v[100:103]// 00000000449C: D3F30064 1D926582
	v_mfma_f32_16x16x32_fp8_fp8 v[100:103], a[132:133], a[52:53], v[100:103]// 0000000044A4: D3F30064 1D926984
	v_mfma_f32_16x16x32_fp8_fp8 v[100:103], a[134:135], a[54:55], v[100:103]// 0000000044AC: D3F30064 1D926D86
	v_mfma_f32_16x16x32_fp8_fp8 v[128:131], a[136:137], a[48:49], v[128:131]// 0000000044B4: D3F30080 1E026188
	v_mfma_f32_16x16x32_fp8_fp8 v[128:131], a[138:139], a[50:51], v[128:131]// 0000000044BC: D3F30080 1E02658A
	v_mfma_f32_16x16x32_fp8_fp8 v[128:131], a[140:141], a[52:53], v[128:131]// 0000000044C4: D3F30080 1E02698C
	v_mfma_f32_16x16x32_fp8_fp8 v[128:131], a[142:143], a[54:55], v[128:131]// 0000000044CC: D3F30080 1E026D8E
	s_waitcnt vmcnt(18)                                        // 0000000044D4: BF8C4F72
	s_barrier                                                  // 0000000044D8: BF8A0000
	v_mfma_f32_16x16x32_fp8_fp8 v[132:135], a[144:145], a[0:1], v[132:135]// 0000000044DC: D3F30084 1E120190
	v_mfma_f32_16x16x32_fp8_fp8 v[132:135], a[146:147], a[2:3], v[132:135]// 0000000044E4: D3F30084 1E120592
	buffer_load_dwordx4 a[128:131], v72, s[84:87], 0 offen     // 0000000044EC: E05C1000 80958048
	v_mfma_f32_16x16x32_fp8_fp8 v[132:135], a[148:149], a[4:5], v[132:135]// 0000000044F4: D3F30084 1E120994
	v_mfma_f32_16x16x32_fp8_fp8 v[132:135], a[150:151], a[6:7], v[132:135]// 0000000044FC: D3F30084 1E120D96
	ds_read_b128 a[56:59], v2                                  // 000000004504: DBFE0000 38000002
	ds_read_b128 a[60:63], v2 offset:64                        // 00000000450C: DBFE0040 3C000002
	v_mfma_f32_16x16x32_fp8_fp8 v[160:163], a[152:153], a[0:1], v[160:163]// 000000004514: D3F300A0 1E820198
	v_mfma_f32_16x16x32_fp8_fp8 v[160:163], a[154:155], a[2:3], v[160:163]// 00000000451C: D3F300A0 1E82059A
	buffer_load_dwordx4 a[132:135], v72, s[84:87], 0 offen offset:1024// 000000004524: E05C1400 80958448
	v_mfma_f32_16x16x32_fp8_fp8 v[160:163], a[156:157], a[4:5], v[160:163]// 00000000452C: D3F300A0 1E82099C
	v_mfma_f32_16x16x32_fp8_fp8 v[160:163], a[158:159], a[6:7], v[160:163]// 000000004534: D3F300A0 1E820D9E
	ds_read_b128 a[64:67], v2 offset:512                       // 00000000453C: DBFE0200 40000002
	ds_read_b128 a[68:71], v2 offset:576                       // 000000004544: DBFE0240 44000002
	v_mfma_f32_16x16x32_fp8_fp8 v[136:139], a[144:145], a[8:9], v[136:139]// 00000000454C: D3F30088 1E221190
	v_mfma_f32_16x16x32_fp8_fp8 v[136:139], a[146:147], a[10:11], v[136:139]// 000000004554: D3F30088 1E221592
	buffer_load_dwordx4 a[136:139], v73, s[84:87], 0 offen     // 00000000455C: E05C1000 80958849
	v_mfma_f32_16x16x32_fp8_fp8 v[136:139], a[148:149], a[12:13], v[136:139]// 000000004564: D3F30088 1E221994
	v_mfma_f32_16x16x32_fp8_fp8 v[136:139], a[150:151], a[14:15], v[136:139]// 00000000456C: D3F30088 1E221D96
	ds_read_b128 a[72:75], v2 offset:1024                      // 000000004574: DBFE0400 48000002
	ds_read_b128 a[76:79], v2 offset:1088                      // 00000000457C: DBFE0440 4C000002
	v_mfma_f32_16x16x32_fp8_fp8 v[164:167], a[152:153], a[8:9], v[164:167]// 000000004584: D3F300A4 1E921198
	v_mfma_f32_16x16x32_fp8_fp8 v[164:167], a[154:155], a[10:11], v[164:167]// 00000000458C: D3F300A4 1E92159A
	buffer_load_dwordx4 a[140:143], v73, s[84:87], 0 offen offset:1024// 000000004594: E05C1400 80958C49
	v_mfma_f32_16x16x32_fp8_fp8 v[164:167], a[156:157], a[12:13], v[164:167]// 00000000459C: D3F300A4 1E92199C
	v_mfma_f32_16x16x32_fp8_fp8 v[164:167], a[158:159], a[14:15], v[164:167]// 0000000045A4: D3F300A4 1E921D9E
	ds_read_b128 a[80:83], v2 offset:1536                      // 0000000045AC: DBFE0600 50000002
	ds_read_b128 a[84:87], v2 offset:1600                      // 0000000045B4: DBFE0640 54000002
	v_mfma_f32_16x16x32_fp8_fp8 v[140:143], a[144:145], a[16:17], v[140:143]// 0000000045BC: D3F3008C 1E322190
	v_mfma_f32_16x16x32_fp8_fp8 v[140:143], a[146:147], a[18:19], v[140:143]// 0000000045C4: D3F3008C 1E322592
	v_mfma_f32_16x16x32_fp8_fp8 v[140:143], a[148:149], a[20:21], v[140:143]// 0000000045CC: D3F3008C 1E322994
	v_mfma_f32_16x16x32_fp8_fp8 v[140:143], a[150:151], a[22:23], v[140:143]// 0000000045D4: D3F3008C 1E322D96
	ds_read_b128 a[88:91], v2 offset:2048                      // 0000000045DC: DBFE0800 58000002
	ds_read_b128 a[92:95], v2 offset:2112                      // 0000000045E4: DBFE0840 5C000002
	v_mfma_f32_16x16x32_fp8_fp8 v[168:171], a[152:153], a[16:17], v[168:171]// 0000000045EC: D3F300A8 1EA22198
	v_mfma_f32_16x16x32_fp8_fp8 v[168:171], a[154:155], a[18:19], v[168:171]// 0000000045F4: D3F300A8 1EA2259A
	v_mfma_f32_16x16x32_fp8_fp8 v[168:171], a[156:157], a[20:21], v[168:171]// 0000000045FC: D3F300A8 1EA2299C
	v_mfma_f32_16x16x32_fp8_fp8 v[168:171], a[158:159], a[22:23], v[168:171]// 000000004604: D3F300A8 1EA22D9E
	ds_read_b128 a[96:99], v2 offset:2560                      // 00000000460C: DBFE0A00 60000002
	ds_read_b128 a[100:103], v2 offset:2624                    // 000000004614: DBFE0A40 64000002
	v_mfma_f32_16x16x32_fp8_fp8 v[144:147], a[144:145], a[24:25], v[144:147]// 00000000461C: D3F30090 1E423190
	v_mfma_f32_16x16x32_fp8_fp8 v[144:147], a[146:147], a[26:27], v[144:147]// 000000004624: D3F30090 1E423592
	v_mfma_f32_16x16x32_fp8_fp8 v[144:147], a[148:149], a[28:29], v[144:147]// 00000000462C: D3F30090 1E423994
	v_mfma_f32_16x16x32_fp8_fp8 v[144:147], a[150:151], a[30:31], v[144:147]// 000000004634: D3F30090 1E423D96
	ds_read_b128 a[104:107], v2 offset:3072                    // 00000000463C: DBFE0C00 68000002
	ds_read_b128 a[108:111], v2 offset:3136                    // 000000004644: DBFE0C40 6C000002
	v_mfma_f32_16x16x32_fp8_fp8 v[172:175], a[152:153], a[24:25], v[172:175]// 00000000464C: D3F300AC 1EB23198
	v_mfma_f32_16x16x32_fp8_fp8 v[172:175], a[154:155], a[26:27], v[172:175]// 000000004654: D3F300AC 1EB2359A
	v_mfma_f32_16x16x32_fp8_fp8 v[172:175], a[156:157], a[28:29], v[172:175]// 00000000465C: D3F300AC 1EB2399C
	v_mfma_f32_16x16x32_fp8_fp8 v[172:175], a[158:159], a[30:31], v[172:175]// 000000004664: D3F300AC 1EB23D9E
	v_mfma_f32_16x16x32_fp8_fp8 v[148:151], a[144:145], a[32:33], v[148:151]// 00000000466C: D3F30094 1E524190
	v_mfma_f32_16x16x32_fp8_fp8 v[148:151], a[146:147], a[34:35], v[148:151]// 000000004674: D3F30094 1E524592
	v_mfma_f32_16x16x32_fp8_fp8 v[148:151], a[148:149], a[36:37], v[148:151]// 00000000467C: D3F30094 1E524994
	v_mfma_f32_16x16x32_fp8_fp8 v[148:151], a[150:151], a[38:39], v[148:151]// 000000004684: D3F30094 1E524D96
	v_mfma_f32_16x16x32_fp8_fp8 v[176:179], a[152:153], a[32:33], v[176:179]// 00000000468C: D3F300B0 1EC24198
	v_mfma_f32_16x16x32_fp8_fp8 v[176:179], a[154:155], a[34:35], v[176:179]// 000000004694: D3F300B0 1EC2459A
	v_mfma_f32_16x16x32_fp8_fp8 v[176:179], a[156:157], a[36:37], v[176:179]// 00000000469C: D3F300B0 1EC2499C
	v_mfma_f32_16x16x32_fp8_fp8 v[176:179], a[158:159], a[38:39], v[176:179]// 0000000046A4: D3F300B0 1EC24D9E
	v_mfma_f32_16x16x32_fp8_fp8 v[152:155], a[144:145], a[40:41], v[152:155]// 0000000046AC: D3F30098 1E625190
	v_mfma_f32_16x16x32_fp8_fp8 v[152:155], a[146:147], a[42:43], v[152:155]// 0000000046B4: D3F30098 1E625592
	v_mfma_f32_16x16x32_fp8_fp8 v[152:155], a[148:149], a[44:45], v[152:155]// 0000000046BC: D3F30098 1E625994
	v_mfma_f32_16x16x32_fp8_fp8 v[152:155], a[150:151], a[46:47], v[152:155]// 0000000046C4: D3F30098 1E625D96
	v_mfma_f32_16x16x32_fp8_fp8 v[180:183], a[152:153], a[40:41], v[180:183]// 0000000046CC: D3F300B4 1ED25198
	v_mfma_f32_16x16x32_fp8_fp8 v[180:183], a[154:155], a[42:43], v[180:183]// 0000000046D4: D3F300B4 1ED2559A
	v_mfma_f32_16x16x32_fp8_fp8 v[180:183], a[156:157], a[44:45], v[180:183]// 0000000046DC: D3F300B4 1ED2599C
	v_mfma_f32_16x16x32_fp8_fp8 v[180:183], a[158:159], a[46:47], v[180:183]// 0000000046E4: D3F300B4 1ED25D9E
	v_mfma_f32_16x16x32_fp8_fp8 v[156:159], a[144:145], a[48:49], v[156:159]// 0000000046EC: D3F3009C 1E726190
	s_add_u32 s60, 0x180, s80                                  // 0000000046F4: 803C50FF 00000180
	s_cmp_lt_u32 s60, s81                                      // 0000000046FC: BF0A513C
	s_cselect_b32 s57, s57, 0                                  // 000000004700: 85398039
	v_mfma_f32_16x16x32_fp8_fp8 v[156:159], a[146:147], a[50:51], v[156:159]// 000000004704: D3F3009C 1E726592
	s_add_u32 s60, 0x100, s80                                  // 00000000470C: 803C50FF 00000100
	s_cmp_lt_u32 s60, s81                                      // 000000004714: BF0A513C
	s_cselect_b32 s58, s58, 0                                  // 000000004718: 853A803A
	v_mfma_f32_16x16x32_fp8_fp8 v[156:159], a[148:149], a[52:53], v[156:159]// 00000000471C: D3F3009C 1E726994
	s_add_u32 s60, 0x100, s80                                  // 000000004724: 803C50FF 00000100
	s_cmp_lt_u32 s60, s81                                      // 00000000472C: BF0A513C
	s_cselect_b32 s83, s83, 0                                  // 000000004730: 85538053
	v_mfma_f32_16x16x32_fp8_fp8 v[156:159], a[150:151], a[54:55], v[156:159]// 000000004734: D3F3009C 1E726D96
	s_add_u32 s24, s58, s24                                    // 00000000473C: 8018183A
	s_addc_u32 s25, 0, s25                                     // 000000004740: 82191980
	v_mfma_f32_16x16x32_fp8_fp8 v[184:187], a[152:153], a[48:49], v[184:187]// 000000004744: D3F300B8 1EE26198
	s_add_u32 s20, s57, s20                                    // 00000000474C: 80141439
	s_addc_u32 s21, 0, s21                                     // 000000004750: 82151580
	v_mfma_f32_16x16x32_fp8_fp8 v[184:187], a[154:155], a[50:51], v[184:187]// 000000004754: D3F300B8 1EE2659A
	s_add_u32 s84, s83, s84                                    // 00000000475C: 80545453
	s_addc_u32 s85, 0, s85                                     // 000000004760: 82555580
	v_mfma_f32_16x16x32_fp8_fp8 v[184:187], a[156:157], a[52:53], v[184:187]// 000000004764: D3F300B8 1EE2699C
	v_mfma_f32_16x16x32_fp8_fp8 v[184:187], a[158:159], a[54:55], v[184:187]// 00000000476C: D3F300B8 1EE26D9E
	s_addk_i32 s80, 0x80                                       // 000000004774: B7500080
	s_cmp_lt_i32 s80, s81                                      // 000000004778: BF045150
	s_cbranch_scc0 label_0B72                                  // 00000000477C: BF840412
	s_waitcnt vmcnt(18) lgkmcnt(0)                             // 000000004780: BF8C4072
	v_mfma_f32_16x16x32_fp8_fp8 v[76:79], a[112:113], a[56:57], v[76:79]// 000000004784: D3F3004C 1D327170
	v_mfma_f32_16x16x32_fp8_fp8 v[76:79], a[114:115], a[58:59], v[76:79]// 00000000478C: D3F3004C 1D327572
	buffer_load_dwordx4 a[144:147], v72, s[24:27], 0 offen     // 000000004794: E05C1000 80869048
	v_mfma_f32_16x16x32_fp8_fp8 v[76:79], a[116:117], a[60:61], v[76:79]// 00000000479C: D3F3004C 1D327974
	v_mfma_f32_16x16x32_fp8_fp8 v[76:79], a[118:119], a[62:63], v[76:79]// 0000000047A4: D3F3004C 1D327D76
	v_mfma_f32_16x16x32_fp8_fp8 v[104:107], a[120:121], a[56:57], v[104:107]// 0000000047AC: D3F30068 1DA27178
	v_mfma_f32_16x16x32_fp8_fp8 v[104:107], a[122:123], a[58:59], v[104:107]// 0000000047B4: D3F30068 1DA2757A
	buffer_load_dwordx4 a[148:151], v72, s[24:27], 0 offen offset:1024// 0000000047BC: E05C1400 80869448
	v_mfma_f32_16x16x32_fp8_fp8 v[104:107], a[124:125], a[60:61], v[104:107]// 0000000047C4: D3F30068 1DA2797C
	v_mfma_f32_16x16x32_fp8_fp8 v[104:107], a[126:127], a[62:63], v[104:107]// 0000000047CC: D3F30068 1DA27D7E
	v_mfma_f32_16x16x32_fp8_fp8 v[80:83], a[112:113], a[64:65], v[80:83]// 0000000047D4: D3F30050 1D428170
	v_mfma_f32_16x16x32_fp8_fp8 v[80:83], a[114:115], a[66:67], v[80:83]// 0000000047DC: D3F30050 1D428572
	buffer_load_dwordx4 a[152:155], v73, s[24:27], 0 offen     // 0000000047E4: E05C1000 80869849
	v_mfma_f32_16x16x32_fp8_fp8 v[80:83], a[116:117], a[68:69], v[80:83]// 0000000047EC: D3F30050 1D428974
	v_mfma_f32_16x16x32_fp8_fp8 v[80:83], a[118:119], a[70:71], v[80:83]// 0000000047F4: D3F30050 1D428D76
	v_mfma_f32_16x16x32_fp8_fp8 v[108:111], a[120:121], a[64:65], v[108:111]// 0000000047FC: D3F3006C 1DB28178
	v_mfma_f32_16x16x32_fp8_fp8 v[108:111], a[122:123], a[66:67], v[108:111]// 000000004804: D3F3006C 1DB2857A
	buffer_load_dwordx4 a[156:159], v73, s[24:27], 0 offen offset:1024// 00000000480C: E05C1400 80869C49
	buffer_load_dword v58, s[20:23], 0 offen lds               // 000000004814: E0511000 8005003A
	s_add_u32 m0, 0x100, s50                                   // 00000000481C: 807C32FF 00000100
	v_mfma_f32_16x16x32_fp8_fp8 v[108:111], a[124:125], a[68:69], v[108:111]// 000000004824: D3F3006C 1DB2897C
	v_mfma_f32_16x16x32_fp8_fp8 v[108:111], a[126:127], a[70:71], v[108:111]// 00000000482C: D3F3006C 1DB28D7E
	buffer_load_dword v59, s[20:23], 0 offen lds               // 000000004834: E0511000 8005003B
	s_add_u32 m0, 0x200, s50                                   // 00000000483C: 807C32FF 00000200
	v_mfma_f32_16x16x32_fp8_fp8 v[84:87], a[112:113], a[72:73], v[84:87]// 000000004844: D3F30054 1D529170
	v_mfma_f32_16x16x32_fp8_fp8 v[84:87], a[114:115], a[74:75], v[84:87]// 00000000484C: D3F30054 1D529572
	buffer_load_dword v60, s[20:23], 0 offen lds               // 000000004854: E0511000 8005003C
	s_add_u32 m0, 0x300, s50                                   // 00000000485C: 807C32FF 00000300
	v_mfma_f32_16x16x32_fp8_fp8 v[84:87], a[116:117], a[76:77], v[84:87]// 000000004864: D3F30054 1D529974
	v_mfma_f32_16x16x32_fp8_fp8 v[84:87], a[118:119], a[78:79], v[84:87]// 00000000486C: D3F30054 1D529D76
	buffer_load_dword v61, s[20:23], 0 offen lds               // 000000004874: E0511000 8005003D
	s_add_u32 m0, 0x400, s50                                   // 00000000487C: 807C32FF 00000400
	v_mfma_f32_16x16x32_fp8_fp8 v[112:115], a[120:121], a[72:73], v[112:115]// 000000004884: D3F30070 1DC29178
	v_mfma_f32_16x16x32_fp8_fp8 v[112:115], a[122:123], a[74:75], v[112:115]// 00000000488C: D3F30070 1DC2957A
	buffer_load_dword v62, s[20:23], 0 offen lds               // 000000004894: E0511000 8005003E
	s_add_u32 m0, 0x500, s50                                   // 00000000489C: 807C32FF 00000500
	v_mfma_f32_16x16x32_fp8_fp8 v[112:115], a[124:125], a[76:77], v[112:115]// 0000000048A4: D3F30070 1DC2997C
	v_mfma_f32_16x16x32_fp8_fp8 v[112:115], a[126:127], a[78:79], v[112:115]// 0000000048AC: D3F30070 1DC29D7E
	buffer_load_dword v63, s[20:23], 0 offen lds               // 0000000048B4: E0511000 8005003F
	s_add_u32 m0, 0x600, s50                                   // 0000000048BC: 807C32FF 00000600
	v_mfma_f32_16x16x32_fp8_fp8 v[88:91], a[112:113], a[80:81], v[88:91]// 0000000048C4: D3F30058 1D62A170
	v_mfma_f32_16x16x32_fp8_fp8 v[88:91], a[114:115], a[82:83], v[88:91]// 0000000048CC: D3F30058 1D62A572
	buffer_load_dword v64, s[20:23], 0 offen lds               // 0000000048D4: E0511000 80050040
	s_add_u32 m0, 0x700, s50                                   // 0000000048DC: 807C32FF 00000700
	v_mfma_f32_16x16x32_fp8_fp8 v[88:91], a[116:117], a[84:85], v[88:91]// 0000000048E4: D3F30058 1D62A974
	v_mfma_f32_16x16x32_fp8_fp8 v[88:91], a[118:119], a[86:87], v[88:91]// 0000000048EC: D3F30058 1D62AD76
	buffer_load_dword v65, s[20:23], 0 offen lds               // 0000000048F4: E0511000 80050041
	s_add_u32 m0, 0x800, s50                                   // 0000000048FC: 807C32FF 00000800
	v_mfma_f32_16x16x32_fp8_fp8 v[116:119], a[120:121], a[80:81], v[116:119]// 000000004904: D3F30074 1DD2A178
	v_mfma_f32_16x16x32_fp8_fp8 v[116:119], a[122:123], a[82:83], v[116:119]// 00000000490C: D3F30074 1DD2A57A
	buffer_load_dword v66, s[20:23], 0 offen lds               // 000000004914: E0511000 80050042
	s_add_u32 m0, 0x900, s50                                   // 00000000491C: 807C32FF 00000900
	v_mfma_f32_16x16x32_fp8_fp8 v[116:119], a[124:125], a[84:85], v[116:119]// 000000004924: D3F30074 1DD2A97C
	v_mfma_f32_16x16x32_fp8_fp8 v[116:119], a[126:127], a[86:87], v[116:119]// 00000000492C: D3F30074 1DD2AD7E
	buffer_load_dword v67, s[20:23], 0 offen lds               // 000000004934: E0511000 80050043
	s_add_u32 m0, 0xa00, s50                                   // 00000000493C: 807C32FF 00000A00
	v_mfma_f32_16x16x32_fp8_fp8 v[92:95], a[112:113], a[88:89], v[92:95]// 000000004944: D3F3005C 1D72B170
	v_mfma_f32_16x16x32_fp8_fp8 v[92:95], a[114:115], a[90:91], v[92:95]// 00000000494C: D3F3005C 1D72B572
	buffer_load_dword v68, s[20:23], 0 offen lds               // 000000004954: E0511000 80050044
	s_add_u32 m0, 0xb00, s50                                   // 00000000495C: 807C32FF 00000B00
	v_mfma_f32_16x16x32_fp8_fp8 v[92:95], a[116:117], a[92:93], v[92:95]// 000000004964: D3F3005C 1D72B974
	v_mfma_f32_16x16x32_fp8_fp8 v[92:95], a[118:119], a[94:95], v[92:95]// 00000000496C: D3F3005C 1D72BD76
	buffer_load_dword v69, s[20:23], 0 offen lds               // 000000004974: E0511000 80050045
	s_add_u32 m0, 0xc00, s50                                   // 00000000497C: 807C32FF 00000C00
	v_mfma_f32_16x16x32_fp8_fp8 v[120:123], a[120:121], a[88:89], v[120:123]// 000000004984: D3F30078 1DE2B178
	v_mfma_f32_16x16x32_fp8_fp8 v[120:123], a[122:123], a[90:91], v[120:123]// 00000000498C: D3F30078 1DE2B57A
	buffer_load_dword v70, s[20:23], 0 offen lds               // 000000004994: E0511000 80050046
	s_add_u32 m0, 0xd00, s50                                   // 00000000499C: 807C32FF 00000D00
	v_mfma_f32_16x16x32_fp8_fp8 v[120:123], a[124:125], a[92:93], v[120:123]// 0000000049A4: D3F30078 1DE2B97C
	v_mfma_f32_16x16x32_fp8_fp8 v[120:123], a[126:127], a[94:95], v[120:123]// 0000000049AC: D3F30078 1DE2BD7E
	buffer_load_dword v71, s[20:23], 0 offen lds               // 0000000049B4: E0511000 80050047
	s_add_u32 m0, 0, s48                                       // 0000000049BC: 807C3080
	v_mfma_f32_16x16x32_fp8_fp8 v[96:99], a[112:113], a[96:97], v[96:99]// 0000000049C0: D3F30060 1D82C170
	v_mfma_f32_16x16x32_fp8_fp8 v[96:99], a[114:115], a[98:99], v[96:99]// 0000000049C8: D3F30060 1D82C572
	v_mfma_f32_16x16x32_fp8_fp8 v[96:99], a[116:117], a[100:101], v[96:99]// 0000000049D0: D3F30060 1D82C974
	v_mfma_f32_16x16x32_fp8_fp8 v[96:99], a[118:119], a[102:103], v[96:99]// 0000000049D8: D3F30060 1D82CD76
	v_mfma_f32_16x16x32_fp8_fp8 v[124:127], a[120:121], a[96:97], v[124:127]// 0000000049E0: D3F3007C 1DF2C178
	v_mfma_f32_16x16x32_fp8_fp8 v[124:127], a[122:123], a[98:99], v[124:127]// 0000000049E8: D3F3007C 1DF2C57A
	v_mfma_f32_16x16x32_fp8_fp8 v[124:127], a[124:125], a[100:101], v[124:127]// 0000000049F0: D3F3007C 1DF2C97C
	v_mfma_f32_16x16x32_fp8_fp8 v[124:127], a[126:127], a[102:103], v[124:127]// 0000000049F8: D3F3007C 1DF2CD7E
	v_mfma_f32_16x16x32_fp8_fp8 v[100:103], a[112:113], a[104:105], v[100:103]// 000000004A00: D3F30064 1D92D170
	v_mfma_f32_16x16x32_fp8_fp8 v[100:103], a[114:115], a[106:107], v[100:103]// 000000004A08: D3F30064 1D92D572
	v_mfma_f32_16x16x32_fp8_fp8 v[100:103], a[116:117], a[108:109], v[100:103]// 000000004A10: D3F30064 1D92D974
	v_mfma_f32_16x16x32_fp8_fp8 v[100:103], a[118:119], a[110:111], v[100:103]// 000000004A18: D3F30064 1D92DD76
	v_mfma_f32_16x16x32_fp8_fp8 v[128:131], a[120:121], a[104:105], v[128:131]// 000000004A20: D3F30080 1E02D178
	v_mfma_f32_16x16x32_fp8_fp8 v[128:131], a[122:123], a[106:107], v[128:131]// 000000004A28: D3F30080 1E02D57A
	v_mfma_f32_16x16x32_fp8_fp8 v[128:131], a[124:125], a[108:109], v[128:131]// 000000004A30: D3F30080 1E02D97C
	v_mfma_f32_16x16x32_fp8_fp8 v[128:131], a[126:127], a[110:111], v[128:131]// 000000004A38: D3F30080 1E02DD7E
	s_waitcnt vmcnt(18)                                        // 000000004A40: BF8C4F72
	s_barrier                                                  // 000000004A44: BF8A0000
	v_mfma_f32_16x16x32_fp8_fp8 v[132:135], a[128:129], a[56:57], v[132:135]// 000000004A48: D3F30084 1E127180
	v_mfma_f32_16x16x32_fp8_fp8 v[132:135], a[130:131], a[58:59], v[132:135]// 000000004A50: D3F30084 1E127582
	buffer_load_dwordx4 a[112:115], v72, s[84:87], 0 offen     // 000000004A58: E05C1000 80957048
	v_mfma_f32_16x16x32_fp8_fp8 v[132:135], a[132:133], a[60:61], v[132:135]// 000000004A60: D3F30084 1E127984
	v_mfma_f32_16x16x32_fp8_fp8 v[132:135], a[134:135], a[62:63], v[132:135]// 000000004A68: D3F30084 1E127D86
	ds_read_b128 a[0:3], v2 offset:14464                       // 000000004A70: DBFE3880 00000002
	ds_read_b128 a[4:7], v2 offset:14528                       // 000000004A78: DBFE38C0 04000002
	v_mfma_f32_16x16x32_fp8_fp8 v[160:163], a[136:137], a[56:57], v[160:163]// 000000004A80: D3F300A0 1E827188
	v_mfma_f32_16x16x32_fp8_fp8 v[160:163], a[138:139], a[58:59], v[160:163]// 000000004A88: D3F300A0 1E82758A
	buffer_load_dwordx4 a[116:119], v72, s[84:87], 0 offen offset:1024// 000000004A90: E05C1400 80957448
	v_mfma_f32_16x16x32_fp8_fp8 v[160:163], a[140:141], a[60:61], v[160:163]// 000000004A98: D3F300A0 1E82798C
	v_mfma_f32_16x16x32_fp8_fp8 v[160:163], a[142:143], a[62:63], v[160:163]// 000000004AA0: D3F300A0 1E827D8E
	ds_read_b128 a[8:11], v2 offset:14976                      // 000000004AA8: DBFE3A80 08000002
	ds_read_b128 a[12:15], v2 offset:15040                     // 000000004AB0: DBFE3AC0 0C000002
	v_mfma_f32_16x16x32_fp8_fp8 v[136:139], a[128:129], a[64:65], v[136:139]// 000000004AB8: D3F30088 1E228180
	v_mfma_f32_16x16x32_fp8_fp8 v[136:139], a[130:131], a[66:67], v[136:139]// 000000004AC0: D3F30088 1E228582
	buffer_load_dwordx4 a[120:123], v73, s[84:87], 0 offen     // 000000004AC8: E05C1000 80957849
	v_mfma_f32_16x16x32_fp8_fp8 v[136:139], a[132:133], a[68:69], v[136:139]// 000000004AD0: D3F30088 1E228984
	v_mfma_f32_16x16x32_fp8_fp8 v[136:139], a[134:135], a[70:71], v[136:139]// 000000004AD8: D3F30088 1E228D86
	ds_read_b128 a[16:19], v2 offset:15488                     // 000000004AE0: DBFE3C80 10000002
	ds_read_b128 a[20:23], v2 offset:15552                     // 000000004AE8: DBFE3CC0 14000002
	v_mfma_f32_16x16x32_fp8_fp8 v[164:167], a[136:137], a[64:65], v[164:167]// 000000004AF0: D3F300A4 1E928188
	v_mfma_f32_16x16x32_fp8_fp8 v[164:167], a[138:139], a[66:67], v[164:167]// 000000004AF8: D3F300A4 1E92858A
	buffer_load_dwordx4 a[124:127], v73, s[84:87], 0 offen offset:1024// 000000004B00: E05C1400 80957C49
	v_mfma_f32_16x16x32_fp8_fp8 v[164:167], a[140:141], a[68:69], v[164:167]// 000000004B08: D3F300A4 1E92898C
	v_mfma_f32_16x16x32_fp8_fp8 v[164:167], a[142:143], a[70:71], v[164:167]// 000000004B10: D3F300A4 1E928D8E
	ds_read_b128 a[24:27], v2 offset:16000                     // 000000004B18: DBFE3E80 18000002
	ds_read_b128 a[28:31], v2 offset:16064                     // 000000004B20: DBFE3EC0 1C000002
	v_mfma_f32_16x16x32_fp8_fp8 v[140:143], a[128:129], a[72:73], v[140:143]// 000000004B28: D3F3008C 1E329180
	v_mfma_f32_16x16x32_fp8_fp8 v[140:143], a[130:131], a[74:75], v[140:143]// 000000004B30: D3F3008C 1E329582
	v_mfma_f32_16x16x32_fp8_fp8 v[140:143], a[132:133], a[76:77], v[140:143]// 000000004B38: D3F3008C 1E329984
	v_mfma_f32_16x16x32_fp8_fp8 v[140:143], a[134:135], a[78:79], v[140:143]// 000000004B40: D3F3008C 1E329D86
	ds_read_b128 a[32:35], v2 offset:16512                     // 000000004B48: DBFE4080 20000002
	ds_read_b128 a[36:39], v2 offset:16576                     // 000000004B50: DBFE40C0 24000002
	v_mfma_f32_16x16x32_fp8_fp8 v[168:171], a[136:137], a[72:73], v[168:171]// 000000004B58: D3F300A8 1EA29188
	v_mfma_f32_16x16x32_fp8_fp8 v[168:171], a[138:139], a[74:75], v[168:171]// 000000004B60: D3F300A8 1EA2958A
	v_mfma_f32_16x16x32_fp8_fp8 v[168:171], a[140:141], a[76:77], v[168:171]// 000000004B68: D3F300A8 1EA2998C
	v_mfma_f32_16x16x32_fp8_fp8 v[168:171], a[142:143], a[78:79], v[168:171]// 000000004B70: D3F300A8 1EA29D8E
	ds_read_b128 a[40:43], v2 offset:17024                     // 000000004B78: DBFE4280 28000002
	ds_read_b128 a[44:47], v2 offset:17088                     // 000000004B80: DBFE42C0 2C000002
	v_mfma_f32_16x16x32_fp8_fp8 v[144:147], a[128:129], a[80:81], v[144:147]// 000000004B88: D3F30090 1E42A180
	v_mfma_f32_16x16x32_fp8_fp8 v[144:147], a[130:131], a[82:83], v[144:147]// 000000004B90: D3F30090 1E42A582
	v_mfma_f32_16x16x32_fp8_fp8 v[144:147], a[132:133], a[84:85], v[144:147]// 000000004B98: D3F30090 1E42A984
	v_mfma_f32_16x16x32_fp8_fp8 v[144:147], a[134:135], a[86:87], v[144:147]// 000000004BA0: D3F30090 1E42AD86
	ds_read_b128 a[48:51], v2 offset:17536                     // 000000004BA8: DBFE4480 30000002
	ds_read_b128 a[52:55], v2 offset:17600                     // 000000004BB0: DBFE44C0 34000002
	v_mfma_f32_16x16x32_fp8_fp8 v[172:175], a[136:137], a[80:81], v[172:175]// 000000004BB8: D3F300AC 1EB2A188
	v_mfma_f32_16x16x32_fp8_fp8 v[172:175], a[138:139], a[82:83], v[172:175]// 000000004BC0: D3F300AC 1EB2A58A
	v_mfma_f32_16x16x32_fp8_fp8 v[172:175], a[140:141], a[84:85], v[172:175]// 000000004BC8: D3F300AC 1EB2A98C
	v_mfma_f32_16x16x32_fp8_fp8 v[172:175], a[142:143], a[86:87], v[172:175]// 000000004BD0: D3F300AC 1EB2AD8E
	v_mfma_f32_16x16x32_fp8_fp8 v[148:151], a[128:129], a[88:89], v[148:151]// 000000004BD8: D3F30094 1E52B180
	v_mfma_f32_16x16x32_fp8_fp8 v[148:151], a[130:131], a[90:91], v[148:151]// 000000004BE0: D3F30094 1E52B582
	v_mfma_f32_16x16x32_fp8_fp8 v[148:151], a[132:133], a[92:93], v[148:151]// 000000004BE8: D3F30094 1E52B984
	v_mfma_f32_16x16x32_fp8_fp8 v[148:151], a[134:135], a[94:95], v[148:151]// 000000004BF0: D3F30094 1E52BD86
	v_mfma_f32_16x16x32_fp8_fp8 v[176:179], a[136:137], a[88:89], v[176:179]// 000000004BF8: D3F300B0 1EC2B188
	v_mfma_f32_16x16x32_fp8_fp8 v[176:179], a[138:139], a[90:91], v[176:179]// 000000004C00: D3F300B0 1EC2B58A
	v_mfma_f32_16x16x32_fp8_fp8 v[176:179], a[140:141], a[92:93], v[176:179]// 000000004C08: D3F300B0 1EC2B98C
	v_mfma_f32_16x16x32_fp8_fp8 v[176:179], a[142:143], a[94:95], v[176:179]// 000000004C10: D3F300B0 1EC2BD8E
	v_mfma_f32_16x16x32_fp8_fp8 v[152:155], a[128:129], a[96:97], v[152:155]// 000000004C18: D3F30098 1E62C180
	v_mfma_f32_16x16x32_fp8_fp8 v[152:155], a[130:131], a[98:99], v[152:155]// 000000004C20: D3F30098 1E62C582
	v_mfma_f32_16x16x32_fp8_fp8 v[152:155], a[132:133], a[100:101], v[152:155]// 000000004C28: D3F30098 1E62C984
	v_mfma_f32_16x16x32_fp8_fp8 v[152:155], a[134:135], a[102:103], v[152:155]// 000000004C30: D3F30098 1E62CD86
	v_mfma_f32_16x16x32_fp8_fp8 v[180:183], a[136:137], a[96:97], v[180:183]// 000000004C38: D3F300B4 1ED2C188
	v_mfma_f32_16x16x32_fp8_fp8 v[180:183], a[138:139], a[98:99], v[180:183]// 000000004C40: D3F300B4 1ED2C58A
	v_mfma_f32_16x16x32_fp8_fp8 v[180:183], a[140:141], a[100:101], v[180:183]// 000000004C48: D3F300B4 1ED2C98C
	v_mfma_f32_16x16x32_fp8_fp8 v[180:183], a[142:143], a[102:103], v[180:183]// 000000004C50: D3F300B4 1ED2CD8E
	v_mfma_f32_16x16x32_fp8_fp8 v[156:159], a[128:129], a[104:105], v[156:159]// 000000004C58: D3F3009C 1E72D180
	s_add_u32 s60, 0x180, s80                                  // 000000004C60: 803C50FF 00000180
	s_cmp_lt_u32 s60, s81                                      // 000000004C68: BF0A513C
	s_cselect_b32 s57, s57, 0                                  // 000000004C6C: 85398039
	v_mfma_f32_16x16x32_fp8_fp8 v[156:159], a[130:131], a[106:107], v[156:159]// 000000004C70: D3F3009C 1E72D582
	s_add_u32 s60, 0x100, s80                                  // 000000004C78: 803C50FF 00000100
	s_cmp_lt_u32 s60, s81                                      // 000000004C80: BF0A513C
	s_cselect_b32 s58, s58, 0                                  // 000000004C84: 853A803A
	v_mfma_f32_16x16x32_fp8_fp8 v[156:159], a[132:133], a[108:109], v[156:159]// 000000004C88: D3F3009C 1E72D984
	s_add_u32 s60, 0x100, s80                                  // 000000004C90: 803C50FF 00000100
	s_cmp_lt_u32 s60, s81                                      // 000000004C98: BF0A513C
	s_cselect_b32 s83, s83, 0                                  // 000000004C9C: 85538053
	v_mfma_f32_16x16x32_fp8_fp8 v[156:159], a[134:135], a[110:111], v[156:159]// 000000004CA0: D3F3009C 1E72DD86
	s_add_u32 s24, s58, s24                                    // 000000004CA8: 8018183A
	s_addc_u32 s25, 0, s25                                     // 000000004CAC: 82191980
	v_mfma_f32_16x16x32_fp8_fp8 v[184:187], a[136:137], a[104:105], v[184:187]// 000000004CB0: D3F300B8 1EE2D188
	s_add_u32 s20, s57, s20                                    // 000000004CB8: 80141439
	s_addc_u32 s21, 0, s21                                     // 000000004CBC: 82151580
	v_mfma_f32_16x16x32_fp8_fp8 v[184:187], a[138:139], a[106:107], v[184:187]// 000000004CC0: D3F300B8 1EE2D58A
	s_add_u32 s84, s83, s84                                    // 000000004CC8: 80545453
	s_addc_u32 s85, 0, s85                                     // 000000004CCC: 82555580
	v_mfma_f32_16x16x32_fp8_fp8 v[184:187], a[140:141], a[108:109], v[184:187]// 000000004CD0: D3F300B8 1EE2D98C
	v_mfma_f32_16x16x32_fp8_fp8 v[184:187], a[142:143], a[110:111], v[184:187]// 000000004CD8: D3F300B8 1EE2DD8E
	s_addk_i32 s80, 0x80                                       // 000000004CE0: B7500080
	s_cmp_lt_i32 s80, s81                                      // 000000004CE4: BF045150
	s_cbranch_scc0 label_0B72                                  // 000000004CE8: BF8402B7
	s_waitcnt vmcnt(18) lgkmcnt(0)                             // 000000004CEC: BF8C4072
	v_mfma_f32_16x16x32_fp8_fp8 v[76:79], a[144:145], a[0:1], v[76:79]// 000000004CF0: D3F3004C 1D320190
	v_mfma_f32_16x16x32_fp8_fp8 v[76:79], a[146:147], a[2:3], v[76:79]// 000000004CF8: D3F3004C 1D320592
	buffer_load_dwordx4 a[128:131], v72, s[24:27], 0 offen     // 000000004D00: E05C1000 80868048
	v_mfma_f32_16x16x32_fp8_fp8 v[76:79], a[148:149], a[4:5], v[76:79]// 000000004D08: D3F3004C 1D320994
	v_mfma_f32_16x16x32_fp8_fp8 v[76:79], a[150:151], a[6:7], v[76:79]// 000000004D10: D3F3004C 1D320D96
	v_mfma_f32_16x16x32_fp8_fp8 v[104:107], a[152:153], a[0:1], v[104:107]// 000000004D18: D3F30068 1DA20198
	v_mfma_f32_16x16x32_fp8_fp8 v[104:107], a[154:155], a[2:3], v[104:107]// 000000004D20: D3F30068 1DA2059A
	buffer_load_dwordx4 a[132:135], v72, s[24:27], 0 offen offset:1024// 000000004D28: E05C1400 80868448
	v_mfma_f32_16x16x32_fp8_fp8 v[104:107], a[156:157], a[4:5], v[104:107]// 000000004D30: D3F30068 1DA2099C
	v_mfma_f32_16x16x32_fp8_fp8 v[104:107], a[158:159], a[6:7], v[104:107]// 000000004D38: D3F30068 1DA20D9E
	v_mfma_f32_16x16x32_fp8_fp8 v[80:83], a[144:145], a[8:9], v[80:83]// 000000004D40: D3F30050 1D421190
	v_mfma_f32_16x16x32_fp8_fp8 v[80:83], a[146:147], a[10:11], v[80:83]// 000000004D48: D3F30050 1D421592
	buffer_load_dwordx4 a[136:139], v73, s[24:27], 0 offen     // 000000004D50: E05C1000 80868849
	v_mfma_f32_16x16x32_fp8_fp8 v[80:83], a[148:149], a[12:13], v[80:83]// 000000004D58: D3F30050 1D421994
	v_mfma_f32_16x16x32_fp8_fp8 v[80:83], a[150:151], a[14:15], v[80:83]// 000000004D60: D3F30050 1D421D96
	v_mfma_f32_16x16x32_fp8_fp8 v[108:111], a[152:153], a[8:9], v[108:111]// 000000004D68: D3F3006C 1DB21198
	v_mfma_f32_16x16x32_fp8_fp8 v[108:111], a[154:155], a[10:11], v[108:111]// 000000004D70: D3F3006C 1DB2159A
	buffer_load_dwordx4 a[140:143], v73, s[24:27], 0 offen offset:1024// 000000004D78: E05C1400 80868C49
	buffer_load_dword v58, s[20:23], 0 offen lds               // 000000004D80: E0511000 8005003A
	s_add_u32 m0, 0x100, s48                                   // 000000004D88: 807C30FF 00000100
	v_mfma_f32_16x16x32_fp8_fp8 v[108:111], a[156:157], a[12:13], v[108:111]// 000000004D90: D3F3006C 1DB2199C
	v_mfma_f32_16x16x32_fp8_fp8 v[108:111], a[158:159], a[14:15], v[108:111]// 000000004D98: D3F3006C 1DB21D9E
	buffer_load_dword v59, s[20:23], 0 offen lds               // 000000004DA0: E0511000 8005003B
	s_add_u32 m0, 0x200, s48                                   // 000000004DA8: 807C30FF 00000200
	v_mfma_f32_16x16x32_fp8_fp8 v[84:87], a[144:145], a[16:17], v[84:87]// 000000004DB0: D3F30054 1D522190
	v_mfma_f32_16x16x32_fp8_fp8 v[84:87], a[146:147], a[18:19], v[84:87]// 000000004DB8: D3F30054 1D522592
	buffer_load_dword v60, s[20:23], 0 offen lds               // 000000004DC0: E0511000 8005003C
	s_add_u32 m0, 0x300, s48                                   // 000000004DC8: 807C30FF 00000300
	v_mfma_f32_16x16x32_fp8_fp8 v[84:87], a[148:149], a[20:21], v[84:87]// 000000004DD0: D3F30054 1D522994
	v_mfma_f32_16x16x32_fp8_fp8 v[84:87], a[150:151], a[22:23], v[84:87]// 000000004DD8: D3F30054 1D522D96
	buffer_load_dword v61, s[20:23], 0 offen lds               // 000000004DE0: E0511000 8005003D
	s_add_u32 m0, 0x400, s48                                   // 000000004DE8: 807C30FF 00000400
	v_mfma_f32_16x16x32_fp8_fp8 v[112:115], a[152:153], a[16:17], v[112:115]// 000000004DF0: D3F30070 1DC22198
	v_mfma_f32_16x16x32_fp8_fp8 v[112:115], a[154:155], a[18:19], v[112:115]// 000000004DF8: D3F30070 1DC2259A
	buffer_load_dword v62, s[20:23], 0 offen lds               // 000000004E00: E0511000 8005003E
	s_add_u32 m0, 0x500, s48                                   // 000000004E08: 807C30FF 00000500
	v_mfma_f32_16x16x32_fp8_fp8 v[112:115], a[156:157], a[20:21], v[112:115]// 000000004E10: D3F30070 1DC2299C
	v_mfma_f32_16x16x32_fp8_fp8 v[112:115], a[158:159], a[22:23], v[112:115]// 000000004E18: D3F30070 1DC22D9E
	buffer_load_dword v63, s[20:23], 0 offen lds               // 000000004E20: E0511000 8005003F
	s_add_u32 m0, 0x600, s48                                   // 000000004E28: 807C30FF 00000600
	v_mfma_f32_16x16x32_fp8_fp8 v[88:91], a[144:145], a[24:25], v[88:91]// 000000004E30: D3F30058 1D623190
	v_mfma_f32_16x16x32_fp8_fp8 v[88:91], a[146:147], a[26:27], v[88:91]// 000000004E38: D3F30058 1D623592
	buffer_load_dword v64, s[20:23], 0 offen lds               // 000000004E40: E0511000 80050040
	s_add_u32 m0, 0x700, s48                                   // 000000004E48: 807C30FF 00000700
	v_mfma_f32_16x16x32_fp8_fp8 v[88:91], a[148:149], a[28:29], v[88:91]// 000000004E50: D3F30058 1D623994
	v_mfma_f32_16x16x32_fp8_fp8 v[88:91], a[150:151], a[30:31], v[88:91]// 000000004E58: D3F30058 1D623D96
	buffer_load_dword v65, s[20:23], 0 offen lds               // 000000004E60: E0511000 80050041
	s_add_u32 m0, 0x800, s48                                   // 000000004E68: 807C30FF 00000800
	v_mfma_f32_16x16x32_fp8_fp8 v[116:119], a[152:153], a[24:25], v[116:119]// 000000004E70: D3F30074 1DD23198
	v_mfma_f32_16x16x32_fp8_fp8 v[116:119], a[154:155], a[26:27], v[116:119]// 000000004E78: D3F30074 1DD2359A
	buffer_load_dword v66, s[20:23], 0 offen lds               // 000000004E80: E0511000 80050042
	s_add_u32 m0, 0x900, s48                                   // 000000004E88: 807C30FF 00000900
	v_mfma_f32_16x16x32_fp8_fp8 v[116:119], a[156:157], a[28:29], v[116:119]// 000000004E90: D3F30074 1DD2399C
	v_mfma_f32_16x16x32_fp8_fp8 v[116:119], a[158:159], a[30:31], v[116:119]// 000000004E98: D3F30074 1DD23D9E
	buffer_load_dword v67, s[20:23], 0 offen lds               // 000000004EA0: E0511000 80050043
	s_add_u32 m0, 0xa00, s48                                   // 000000004EA8: 807C30FF 00000A00
	v_mfma_f32_16x16x32_fp8_fp8 v[92:95], a[144:145], a[32:33], v[92:95]// 000000004EB0: D3F3005C 1D724190
	v_mfma_f32_16x16x32_fp8_fp8 v[92:95], a[146:147], a[34:35], v[92:95]// 000000004EB8: D3F3005C 1D724592
	buffer_load_dword v68, s[20:23], 0 offen lds               // 000000004EC0: E0511000 80050044
	s_add_u32 m0, 0xb00, s48                                   // 000000004EC8: 807C30FF 00000B00
	v_mfma_f32_16x16x32_fp8_fp8 v[92:95], a[148:149], a[36:37], v[92:95]// 000000004ED0: D3F3005C 1D724994
	v_mfma_f32_16x16x32_fp8_fp8 v[92:95], a[150:151], a[38:39], v[92:95]// 000000004ED8: D3F3005C 1D724D96
	buffer_load_dword v69, s[20:23], 0 offen lds               // 000000004EE0: E0511000 80050045
	s_add_u32 m0, 0xc00, s48                                   // 000000004EE8: 807C30FF 00000C00
	v_mfma_f32_16x16x32_fp8_fp8 v[120:123], a[152:153], a[32:33], v[120:123]// 000000004EF0: D3F30078 1DE24198
	v_mfma_f32_16x16x32_fp8_fp8 v[120:123], a[154:155], a[34:35], v[120:123]// 000000004EF8: D3F30078 1DE2459A
	buffer_load_dword v70, s[20:23], 0 offen lds               // 000000004F00: E0511000 80050046
	s_add_u32 m0, 0xd00, s48                                   // 000000004F08: 807C30FF 00000D00
	v_mfma_f32_16x16x32_fp8_fp8 v[120:123], a[156:157], a[36:37], v[120:123]// 000000004F10: D3F30078 1DE2499C
	v_mfma_f32_16x16x32_fp8_fp8 v[120:123], a[158:159], a[38:39], v[120:123]// 000000004F18: D3F30078 1DE24D9E
	buffer_load_dword v71, s[20:23], 0 offen lds               // 000000004F20: E0511000 80050047
	s_add_u32 m0, 0, s49                                       // 000000004F28: 807C3180
	v_mfma_f32_16x16x32_fp8_fp8 v[96:99], a[144:145], a[40:41], v[96:99]// 000000004F2C: D3F30060 1D825190
	v_mfma_f32_16x16x32_fp8_fp8 v[96:99], a[146:147], a[42:43], v[96:99]// 000000004F34: D3F30060 1D825592
	v_mfma_f32_16x16x32_fp8_fp8 v[96:99], a[148:149], a[44:45], v[96:99]// 000000004F3C: D3F30060 1D825994
	v_mfma_f32_16x16x32_fp8_fp8 v[96:99], a[150:151], a[46:47], v[96:99]// 000000004F44: D3F30060 1D825D96
	v_mfma_f32_16x16x32_fp8_fp8 v[124:127], a[152:153], a[40:41], v[124:127]// 000000004F4C: D3F3007C 1DF25198
	v_mfma_f32_16x16x32_fp8_fp8 v[124:127], a[154:155], a[42:43], v[124:127]// 000000004F54: D3F3007C 1DF2559A
	v_mfma_f32_16x16x32_fp8_fp8 v[124:127], a[156:157], a[44:45], v[124:127]// 000000004F5C: D3F3007C 1DF2599C
	v_mfma_f32_16x16x32_fp8_fp8 v[124:127], a[158:159], a[46:47], v[124:127]// 000000004F64: D3F3007C 1DF25D9E
	v_mfma_f32_16x16x32_fp8_fp8 v[100:103], a[144:145], a[48:49], v[100:103]// 000000004F6C: D3F30064 1D926190
	v_mfma_f32_16x16x32_fp8_fp8 v[100:103], a[146:147], a[50:51], v[100:103]// 000000004F74: D3F30064 1D926592
	v_mfma_f32_16x16x32_fp8_fp8 v[100:103], a[148:149], a[52:53], v[100:103]// 000000004F7C: D3F30064 1D926994
	v_mfma_f32_16x16x32_fp8_fp8 v[100:103], a[150:151], a[54:55], v[100:103]// 000000004F84: D3F30064 1D926D96
	v_mfma_f32_16x16x32_fp8_fp8 v[128:131], a[152:153], a[48:49], v[128:131]// 000000004F8C: D3F30080 1E026198
	v_mfma_f32_16x16x32_fp8_fp8 v[128:131], a[154:155], a[50:51], v[128:131]// 000000004F94: D3F30080 1E02659A
	v_mfma_f32_16x16x32_fp8_fp8 v[128:131], a[156:157], a[52:53], v[128:131]// 000000004F9C: D3F30080 1E02699C
	v_mfma_f32_16x16x32_fp8_fp8 v[128:131], a[158:159], a[54:55], v[128:131]// 000000004FA4: D3F30080 1E026D9E
	s_waitcnt vmcnt(18)                                        // 000000004FAC: BF8C4F72
	s_barrier                                                  // 000000004FB0: BF8A0000
	v_mfma_f32_16x16x32_fp8_fp8 v[132:135], a[112:113], a[0:1], v[132:135]// 000000004FB4: D3F30084 1E120170
	v_mfma_f32_16x16x32_fp8_fp8 v[132:135], a[114:115], a[2:3], v[132:135]// 000000004FBC: D3F30084 1E120572
	buffer_load_dwordx4 a[144:147], v72, s[84:87], 0 offen     // 000000004FC4: E05C1000 80959048
	v_mfma_f32_16x16x32_fp8_fp8 v[132:135], a[116:117], a[4:5], v[132:135]// 000000004FCC: D3F30084 1E120974
	v_mfma_f32_16x16x32_fp8_fp8 v[132:135], a[118:119], a[6:7], v[132:135]// 000000004FD4: D3F30084 1E120D76
	ds_read_b128 a[56:59], v2 offset:28928                     // 000000004FDC: DBFE7100 38000002
	ds_read_b128 a[60:63], v2 offset:28992                     // 000000004FE4: DBFE7140 3C000002
	v_mfma_f32_16x16x32_fp8_fp8 v[160:163], a[120:121], a[0:1], v[160:163]// 000000004FEC: D3F300A0 1E820178
	v_mfma_f32_16x16x32_fp8_fp8 v[160:163], a[122:123], a[2:3], v[160:163]// 000000004FF4: D3F300A0 1E82057A
	buffer_load_dwordx4 a[148:151], v72, s[84:87], 0 offen offset:1024// 000000004FFC: E05C1400 80959448
	v_mfma_f32_16x16x32_fp8_fp8 v[160:163], a[124:125], a[4:5], v[160:163]// 000000005004: D3F300A0 1E82097C
	v_mfma_f32_16x16x32_fp8_fp8 v[160:163], a[126:127], a[6:7], v[160:163]// 00000000500C: D3F300A0 1E820D7E
	ds_read_b128 a[64:67], v2 offset:29440                     // 000000005014: DBFE7300 40000002
	ds_read_b128 a[68:71], v2 offset:29504                     // 00000000501C: DBFE7340 44000002
	v_mfma_f32_16x16x32_fp8_fp8 v[136:139], a[112:113], a[8:9], v[136:139]// 000000005024: D3F30088 1E221170
	v_mfma_f32_16x16x32_fp8_fp8 v[136:139], a[114:115], a[10:11], v[136:139]// 00000000502C: D3F30088 1E221572
	buffer_load_dwordx4 a[152:155], v73, s[84:87], 0 offen     // 000000005034: E05C1000 80959849
	v_mfma_f32_16x16x32_fp8_fp8 v[136:139], a[116:117], a[12:13], v[136:139]// 00000000503C: D3F30088 1E221974
	v_mfma_f32_16x16x32_fp8_fp8 v[136:139], a[118:119], a[14:15], v[136:139]// 000000005044: D3F30088 1E221D76
	ds_read_b128 a[72:75], v2 offset:29952                     // 00000000504C: DBFE7500 48000002
	ds_read_b128 a[76:79], v2 offset:30016                     // 000000005054: DBFE7540 4C000002
	v_mfma_f32_16x16x32_fp8_fp8 v[164:167], a[120:121], a[8:9], v[164:167]// 00000000505C: D3F300A4 1E921178
	v_mfma_f32_16x16x32_fp8_fp8 v[164:167], a[122:123], a[10:11], v[164:167]// 000000005064: D3F300A4 1E92157A
	buffer_load_dwordx4 a[156:159], v73, s[84:87], 0 offen offset:1024// 00000000506C: E05C1400 80959C49
	v_mfma_f32_16x16x32_fp8_fp8 v[164:167], a[124:125], a[12:13], v[164:167]// 000000005074: D3F300A4 1E92197C
	v_mfma_f32_16x16x32_fp8_fp8 v[164:167], a[126:127], a[14:15], v[164:167]// 00000000507C: D3F300A4 1E921D7E
	ds_read_b128 a[80:83], v2 offset:30464                     // 000000005084: DBFE7700 50000002
	ds_read_b128 a[84:87], v2 offset:30528                     // 00000000508C: DBFE7740 54000002
	v_mfma_f32_16x16x32_fp8_fp8 v[140:143], a[112:113], a[16:17], v[140:143]// 000000005094: D3F3008C 1E322170
	v_mfma_f32_16x16x32_fp8_fp8 v[140:143], a[114:115], a[18:19], v[140:143]// 00000000509C: D3F3008C 1E322572
	v_mfma_f32_16x16x32_fp8_fp8 v[140:143], a[116:117], a[20:21], v[140:143]// 0000000050A4: D3F3008C 1E322974
	v_mfma_f32_16x16x32_fp8_fp8 v[140:143], a[118:119], a[22:23], v[140:143]// 0000000050AC: D3F3008C 1E322D76
	ds_read_b128 a[88:91], v2 offset:30976                     // 0000000050B4: DBFE7900 58000002
	ds_read_b128 a[92:95], v2 offset:31040                     // 0000000050BC: DBFE7940 5C000002
	v_mfma_f32_16x16x32_fp8_fp8 v[168:171], a[120:121], a[16:17], v[168:171]// 0000000050C4: D3F300A8 1EA22178
	v_mfma_f32_16x16x32_fp8_fp8 v[168:171], a[122:123], a[18:19], v[168:171]// 0000000050CC: D3F300A8 1EA2257A
	v_mfma_f32_16x16x32_fp8_fp8 v[168:171], a[124:125], a[20:21], v[168:171]// 0000000050D4: D3F300A8 1EA2297C
	v_mfma_f32_16x16x32_fp8_fp8 v[168:171], a[126:127], a[22:23], v[168:171]// 0000000050DC: D3F300A8 1EA22D7E
	ds_read_b128 a[96:99], v2 offset:31488                     // 0000000050E4: DBFE7B00 60000002
	ds_read_b128 a[100:103], v2 offset:31552                   // 0000000050EC: DBFE7B40 64000002
	v_mfma_f32_16x16x32_fp8_fp8 v[144:147], a[112:113], a[24:25], v[144:147]// 0000000050F4: D3F30090 1E423170
	v_mfma_f32_16x16x32_fp8_fp8 v[144:147], a[114:115], a[26:27], v[144:147]// 0000000050FC: D3F30090 1E423572
	v_mfma_f32_16x16x32_fp8_fp8 v[144:147], a[116:117], a[28:29], v[144:147]// 000000005104: D3F30090 1E423974
	v_mfma_f32_16x16x32_fp8_fp8 v[144:147], a[118:119], a[30:31], v[144:147]// 00000000510C: D3F30090 1E423D76
	ds_read_b128 a[104:107], v2 offset:32000                   // 000000005114: DBFE7D00 68000002
	ds_read_b128 a[108:111], v2 offset:32064                   // 00000000511C: DBFE7D40 6C000002
	v_mfma_f32_16x16x32_fp8_fp8 v[172:175], a[120:121], a[24:25], v[172:175]// 000000005124: D3F300AC 1EB23178
	v_mfma_f32_16x16x32_fp8_fp8 v[172:175], a[122:123], a[26:27], v[172:175]// 00000000512C: D3F300AC 1EB2357A
	v_mfma_f32_16x16x32_fp8_fp8 v[172:175], a[124:125], a[28:29], v[172:175]// 000000005134: D3F300AC 1EB2397C
	v_mfma_f32_16x16x32_fp8_fp8 v[172:175], a[126:127], a[30:31], v[172:175]// 00000000513C: D3F300AC 1EB23D7E
	v_mfma_f32_16x16x32_fp8_fp8 v[148:151], a[112:113], a[32:33], v[148:151]// 000000005144: D3F30094 1E524170
	v_mfma_f32_16x16x32_fp8_fp8 v[148:151], a[114:115], a[34:35], v[148:151]// 00000000514C: D3F30094 1E524572
	v_mfma_f32_16x16x32_fp8_fp8 v[148:151], a[116:117], a[36:37], v[148:151]// 000000005154: D3F30094 1E524974
	v_mfma_f32_16x16x32_fp8_fp8 v[148:151], a[118:119], a[38:39], v[148:151]// 00000000515C: D3F30094 1E524D76
	v_mfma_f32_16x16x32_fp8_fp8 v[176:179], a[120:121], a[32:33], v[176:179]// 000000005164: D3F300B0 1EC24178
	v_mfma_f32_16x16x32_fp8_fp8 v[176:179], a[122:123], a[34:35], v[176:179]// 00000000516C: D3F300B0 1EC2457A
	v_mfma_f32_16x16x32_fp8_fp8 v[176:179], a[124:125], a[36:37], v[176:179]// 000000005174: D3F300B0 1EC2497C
	v_mfma_f32_16x16x32_fp8_fp8 v[176:179], a[126:127], a[38:39], v[176:179]// 00000000517C: D3F300B0 1EC24D7E
	v_mfma_f32_16x16x32_fp8_fp8 v[152:155], a[112:113], a[40:41], v[152:155]// 000000005184: D3F30098 1E625170
	v_mfma_f32_16x16x32_fp8_fp8 v[152:155], a[114:115], a[42:43], v[152:155]// 00000000518C: D3F30098 1E625572
	v_mfma_f32_16x16x32_fp8_fp8 v[152:155], a[116:117], a[44:45], v[152:155]// 000000005194: D3F30098 1E625974
	v_mfma_f32_16x16x32_fp8_fp8 v[152:155], a[118:119], a[46:47], v[152:155]// 00000000519C: D3F30098 1E625D76
	v_mfma_f32_16x16x32_fp8_fp8 v[180:183], a[120:121], a[40:41], v[180:183]// 0000000051A4: D3F300B4 1ED25178
	v_mfma_f32_16x16x32_fp8_fp8 v[180:183], a[122:123], a[42:43], v[180:183]// 0000000051AC: D3F300B4 1ED2557A
	v_mfma_f32_16x16x32_fp8_fp8 v[180:183], a[124:125], a[44:45], v[180:183]// 0000000051B4: D3F300B4 1ED2597C
	v_mfma_f32_16x16x32_fp8_fp8 v[180:183], a[126:127], a[46:47], v[180:183]// 0000000051BC: D3F300B4 1ED25D7E
	v_mfma_f32_16x16x32_fp8_fp8 v[156:159], a[112:113], a[48:49], v[156:159]// 0000000051C4: D3F3009C 1E726170
	s_add_u32 s60, 0x180, s80                                  // 0000000051CC: 803C50FF 00000180
	s_cmp_lt_u32 s60, s81                                      // 0000000051D4: BF0A513C
	s_cselect_b32 s57, s57, 0                                  // 0000000051D8: 85398039
	v_mfma_f32_16x16x32_fp8_fp8 v[156:159], a[114:115], a[50:51], v[156:159]// 0000000051DC: D3F3009C 1E726572
	s_add_u32 s60, 0x100, s80                                  // 0000000051E4: 803C50FF 00000100
	s_cmp_lt_u32 s60, s81                                      // 0000000051EC: BF0A513C
	s_cselect_b32 s58, s58, 0                                  // 0000000051F0: 853A803A
	v_mfma_f32_16x16x32_fp8_fp8 v[156:159], a[116:117], a[52:53], v[156:159]// 0000000051F4: D3F3009C 1E726974
	s_add_u32 s60, 0x100, s80                                  // 0000000051FC: 803C50FF 00000100
	s_cmp_lt_u32 s60, s81                                      // 000000005204: BF0A513C
	s_cselect_b32 s83, s83, 0                                  // 000000005208: 85538053
	v_mfma_f32_16x16x32_fp8_fp8 v[156:159], a[118:119], a[54:55], v[156:159]// 00000000520C: D3F3009C 1E726D76
	s_add_u32 s24, s58, s24                                    // 000000005214: 8018183A
	s_addc_u32 s25, 0, s25                                     // 000000005218: 82191980
	v_mfma_f32_16x16x32_fp8_fp8 v[184:187], a[120:121], a[48:49], v[184:187]// 00000000521C: D3F300B8 1EE26178
	s_add_u32 s20, s57, s20                                    // 000000005224: 80141439
	s_addc_u32 s21, 0, s21                                     // 000000005228: 82151580
	v_mfma_f32_16x16x32_fp8_fp8 v[184:187], a[122:123], a[50:51], v[184:187]// 00000000522C: D3F300B8 1EE2657A
	s_add_u32 s84, s83, s84                                    // 000000005234: 80545453
	s_addc_u32 s85, 0, s85                                     // 000000005238: 82555580
	v_mfma_f32_16x16x32_fp8_fp8 v[184:187], a[124:125], a[52:53], v[184:187]// 00000000523C: D3F300B8 1EE2697C
	v_mfma_f32_16x16x32_fp8_fp8 v[184:187], a[126:127], a[54:55], v[184:187]// 000000005244: D3F300B8 1EE26D7E
	s_addk_i32 s80, 0x80                                       // 00000000524C: B7500080
	s_cmp_lt_i32 s80, s81                                      // 000000005250: BF045150
	s_cbranch_scc0 label_0B72                                  // 000000005254: BF84015C
	s_waitcnt vmcnt(18) lgkmcnt(0)                             // 000000005258: BF8C4072
	v_mfma_f32_16x16x32_fp8_fp8 v[76:79], a[128:129], a[56:57], v[76:79]// 00000000525C: D3F3004C 1D327180
	v_mfma_f32_16x16x32_fp8_fp8 v[76:79], a[130:131], a[58:59], v[76:79]// 000000005264: D3F3004C 1D327582
	buffer_load_dwordx4 a[112:115], v72, s[24:27], 0 offen     // 00000000526C: E05C1000 80867048
	v_mfma_f32_16x16x32_fp8_fp8 v[76:79], a[132:133], a[60:61], v[76:79]// 000000005274: D3F3004C 1D327984
	v_mfma_f32_16x16x32_fp8_fp8 v[76:79], a[134:135], a[62:63], v[76:79]// 00000000527C: D3F3004C 1D327D86
	v_mfma_f32_16x16x32_fp8_fp8 v[104:107], a[136:137], a[56:57], v[104:107]// 000000005284: D3F30068 1DA27188
	v_mfma_f32_16x16x32_fp8_fp8 v[104:107], a[138:139], a[58:59], v[104:107]// 00000000528C: D3F30068 1DA2758A
	buffer_load_dwordx4 a[116:119], v72, s[24:27], 0 offen offset:1024// 000000005294: E05C1400 80867448
	v_mfma_f32_16x16x32_fp8_fp8 v[104:107], a[140:141], a[60:61], v[104:107]// 00000000529C: D3F30068 1DA2798C
	v_mfma_f32_16x16x32_fp8_fp8 v[104:107], a[142:143], a[62:63], v[104:107]// 0000000052A4: D3F30068 1DA27D8E
	v_mfma_f32_16x16x32_fp8_fp8 v[80:83], a[128:129], a[64:65], v[80:83]// 0000000052AC: D3F30050 1D428180
	v_mfma_f32_16x16x32_fp8_fp8 v[80:83], a[130:131], a[66:67], v[80:83]// 0000000052B4: D3F30050 1D428582
	buffer_load_dwordx4 a[120:123], v73, s[24:27], 0 offen     // 0000000052BC: E05C1000 80867849
	v_mfma_f32_16x16x32_fp8_fp8 v[80:83], a[132:133], a[68:69], v[80:83]// 0000000052C4: D3F30050 1D428984
	v_mfma_f32_16x16x32_fp8_fp8 v[80:83], a[134:135], a[70:71], v[80:83]// 0000000052CC: D3F30050 1D428D86
	v_mfma_f32_16x16x32_fp8_fp8 v[108:111], a[136:137], a[64:65], v[108:111]// 0000000052D4: D3F3006C 1DB28188
	v_mfma_f32_16x16x32_fp8_fp8 v[108:111], a[138:139], a[66:67], v[108:111]// 0000000052DC: D3F3006C 1DB2858A
	buffer_load_dwordx4 a[124:127], v73, s[24:27], 0 offen offset:1024// 0000000052E4: E05C1400 80867C49
	buffer_load_dword v58, s[20:23], 0 offen lds               // 0000000052EC: E0511000 8005003A
	s_add_u32 m0, 0x100, s49                                   // 0000000052F4: 807C31FF 00000100
	v_mfma_f32_16x16x32_fp8_fp8 v[108:111], a[140:141], a[68:69], v[108:111]// 0000000052FC: D3F3006C 1DB2898C
	v_mfma_f32_16x16x32_fp8_fp8 v[108:111], a[142:143], a[70:71], v[108:111]// 000000005304: D3F3006C 1DB28D8E
	buffer_load_dword v59, s[20:23], 0 offen lds               // 00000000530C: E0511000 8005003B
	s_add_u32 m0, 0x200, s49                                   // 000000005314: 807C31FF 00000200
	v_mfma_f32_16x16x32_fp8_fp8 v[84:87], a[128:129], a[72:73], v[84:87]// 00000000531C: D3F30054 1D529180
	v_mfma_f32_16x16x32_fp8_fp8 v[84:87], a[130:131], a[74:75], v[84:87]// 000000005324: D3F30054 1D529582
	buffer_load_dword v60, s[20:23], 0 offen lds               // 00000000532C: E0511000 8005003C
	s_add_u32 m0, 0x300, s49                                   // 000000005334: 807C31FF 00000300
	v_mfma_f32_16x16x32_fp8_fp8 v[84:87], a[132:133], a[76:77], v[84:87]// 00000000533C: D3F30054 1D529984
	v_mfma_f32_16x16x32_fp8_fp8 v[84:87], a[134:135], a[78:79], v[84:87]// 000000005344: D3F30054 1D529D86
	buffer_load_dword v61, s[20:23], 0 offen lds               // 00000000534C: E0511000 8005003D
	s_add_u32 m0, 0x400, s49                                   // 000000005354: 807C31FF 00000400
	v_mfma_f32_16x16x32_fp8_fp8 v[112:115], a[136:137], a[72:73], v[112:115]// 00000000535C: D3F30070 1DC29188
	v_mfma_f32_16x16x32_fp8_fp8 v[112:115], a[138:139], a[74:75], v[112:115]// 000000005364: D3F30070 1DC2958A
	buffer_load_dword v62, s[20:23], 0 offen lds               // 00000000536C: E0511000 8005003E
	s_add_u32 m0, 0x500, s49                                   // 000000005374: 807C31FF 00000500
	v_mfma_f32_16x16x32_fp8_fp8 v[112:115], a[140:141], a[76:77], v[112:115]// 00000000537C: D3F30070 1DC2998C
	v_mfma_f32_16x16x32_fp8_fp8 v[112:115], a[142:143], a[78:79], v[112:115]// 000000005384: D3F30070 1DC29D8E
	buffer_load_dword v63, s[20:23], 0 offen lds               // 00000000538C: E0511000 8005003F
	s_add_u32 m0, 0x600, s49                                   // 000000005394: 807C31FF 00000600
	v_mfma_f32_16x16x32_fp8_fp8 v[88:91], a[128:129], a[80:81], v[88:91]// 00000000539C: D3F30058 1D62A180
	v_mfma_f32_16x16x32_fp8_fp8 v[88:91], a[130:131], a[82:83], v[88:91]// 0000000053A4: D3F30058 1D62A582
	buffer_load_dword v64, s[20:23], 0 offen lds               // 0000000053AC: E0511000 80050040
	s_add_u32 m0, 0x700, s49                                   // 0000000053B4: 807C31FF 00000700
	v_mfma_f32_16x16x32_fp8_fp8 v[88:91], a[132:133], a[84:85], v[88:91]// 0000000053BC: D3F30058 1D62A984
	v_mfma_f32_16x16x32_fp8_fp8 v[88:91], a[134:135], a[86:87], v[88:91]// 0000000053C4: D3F30058 1D62AD86
	buffer_load_dword v65, s[20:23], 0 offen lds               // 0000000053CC: E0511000 80050041
	s_add_u32 m0, 0x800, s49                                   // 0000000053D4: 807C31FF 00000800
	v_mfma_f32_16x16x32_fp8_fp8 v[116:119], a[136:137], a[80:81], v[116:119]// 0000000053DC: D3F30074 1DD2A188
	v_mfma_f32_16x16x32_fp8_fp8 v[116:119], a[138:139], a[82:83], v[116:119]// 0000000053E4: D3F30074 1DD2A58A
	buffer_load_dword v66, s[20:23], 0 offen lds               // 0000000053EC: E0511000 80050042
	s_add_u32 m0, 0x900, s49                                   // 0000000053F4: 807C31FF 00000900
	v_mfma_f32_16x16x32_fp8_fp8 v[116:119], a[140:141], a[84:85], v[116:119]// 0000000053FC: D3F30074 1DD2A98C
	v_mfma_f32_16x16x32_fp8_fp8 v[116:119], a[142:143], a[86:87], v[116:119]// 000000005404: D3F30074 1DD2AD8E
	buffer_load_dword v67, s[20:23], 0 offen lds               // 00000000540C: E0511000 80050043
	s_add_u32 m0, 0xa00, s49                                   // 000000005414: 807C31FF 00000A00
	v_mfma_f32_16x16x32_fp8_fp8 v[92:95], a[128:129], a[88:89], v[92:95]// 00000000541C: D3F3005C 1D72B180
	v_mfma_f32_16x16x32_fp8_fp8 v[92:95], a[130:131], a[90:91], v[92:95]// 000000005424: D3F3005C 1D72B582
	buffer_load_dword v68, s[20:23], 0 offen lds               // 00000000542C: E0511000 80050044
	s_add_u32 m0, 0xb00, s49                                   // 000000005434: 807C31FF 00000B00
	v_mfma_f32_16x16x32_fp8_fp8 v[92:95], a[132:133], a[92:93], v[92:95]// 00000000543C: D3F3005C 1D72B984
	v_mfma_f32_16x16x32_fp8_fp8 v[92:95], a[134:135], a[94:95], v[92:95]// 000000005444: D3F3005C 1D72BD86
	buffer_load_dword v69, s[20:23], 0 offen lds               // 00000000544C: E0511000 80050045
	s_add_u32 m0, 0xc00, s49                                   // 000000005454: 807C31FF 00000C00
	v_mfma_f32_16x16x32_fp8_fp8 v[120:123], a[136:137], a[88:89], v[120:123]// 00000000545C: D3F30078 1DE2B188
	v_mfma_f32_16x16x32_fp8_fp8 v[120:123], a[138:139], a[90:91], v[120:123]// 000000005464: D3F30078 1DE2B58A
	buffer_load_dword v70, s[20:23], 0 offen lds               // 00000000546C: E0511000 80050046
	s_add_u32 m0, 0xd00, s49                                   // 000000005474: 807C31FF 00000D00
	v_mfma_f32_16x16x32_fp8_fp8 v[120:123], a[140:141], a[92:93], v[120:123]// 00000000547C: D3F30078 1DE2B98C
	v_mfma_f32_16x16x32_fp8_fp8 v[120:123], a[142:143], a[94:95], v[120:123]// 000000005484: D3F30078 1DE2BD8E
	buffer_load_dword v71, s[20:23], 0 offen lds               // 00000000548C: E0511000 80050047
	s_add_u32 m0, 0, s50                                       // 000000005494: 807C3280
	v_mfma_f32_16x16x32_fp8_fp8 v[96:99], a[128:129], a[96:97], v[96:99]// 000000005498: D3F30060 1D82C180
	v_mfma_f32_16x16x32_fp8_fp8 v[96:99], a[130:131], a[98:99], v[96:99]// 0000000054A0: D3F30060 1D82C582
	v_mfma_f32_16x16x32_fp8_fp8 v[96:99], a[132:133], a[100:101], v[96:99]// 0000000054A8: D3F30060 1D82C984
	v_mfma_f32_16x16x32_fp8_fp8 v[96:99], a[134:135], a[102:103], v[96:99]// 0000000054B0: D3F30060 1D82CD86
	v_mfma_f32_16x16x32_fp8_fp8 v[124:127], a[136:137], a[96:97], v[124:127]// 0000000054B8: D3F3007C 1DF2C188
	v_mfma_f32_16x16x32_fp8_fp8 v[124:127], a[138:139], a[98:99], v[124:127]// 0000000054C0: D3F3007C 1DF2C58A
	v_mfma_f32_16x16x32_fp8_fp8 v[124:127], a[140:141], a[100:101], v[124:127]// 0000000054C8: D3F3007C 1DF2C98C
	v_mfma_f32_16x16x32_fp8_fp8 v[124:127], a[142:143], a[102:103], v[124:127]// 0000000054D0: D3F3007C 1DF2CD8E
	v_mfma_f32_16x16x32_fp8_fp8 v[100:103], a[128:129], a[104:105], v[100:103]// 0000000054D8: D3F30064 1D92D180
	v_mfma_f32_16x16x32_fp8_fp8 v[100:103], a[130:131], a[106:107], v[100:103]// 0000000054E0: D3F30064 1D92D582
	v_mfma_f32_16x16x32_fp8_fp8 v[100:103], a[132:133], a[108:109], v[100:103]// 0000000054E8: D3F30064 1D92D984
	v_mfma_f32_16x16x32_fp8_fp8 v[100:103], a[134:135], a[110:111], v[100:103]// 0000000054F0: D3F30064 1D92DD86
	v_mfma_f32_16x16x32_fp8_fp8 v[128:131], a[136:137], a[104:105], v[128:131]// 0000000054F8: D3F30080 1E02D188
	v_mfma_f32_16x16x32_fp8_fp8 v[128:131], a[138:139], a[106:107], v[128:131]// 000000005500: D3F30080 1E02D58A
	v_mfma_f32_16x16x32_fp8_fp8 v[128:131], a[140:141], a[108:109], v[128:131]// 000000005508: D3F30080 1E02D98C
	v_mfma_f32_16x16x32_fp8_fp8 v[128:131], a[142:143], a[110:111], v[128:131]// 000000005510: D3F30080 1E02DD8E
	s_waitcnt vmcnt(18)                                        // 000000005518: BF8C4F72
	s_barrier                                                  // 00000000551C: BF8A0000
	v_mfma_f32_16x16x32_fp8_fp8 v[132:135], a[144:145], a[56:57], v[132:135]// 000000005520: D3F30084 1E127190
	v_mfma_f32_16x16x32_fp8_fp8 v[132:135], a[146:147], a[58:59], v[132:135]// 000000005528: D3F30084 1E127592
	buffer_load_dwordx4 a[128:131], v72, s[84:87], 0 offen     // 000000005530: E05C1000 80958048
	v_mfma_f32_16x16x32_fp8_fp8 v[132:135], a[148:149], a[60:61], v[132:135]// 000000005538: D3F30084 1E127994
	v_mfma_f32_16x16x32_fp8_fp8 v[132:135], a[150:151], a[62:63], v[132:135]// 000000005540: D3F30084 1E127D96
	ds_read_b128 a[0:3], v2                                    // 000000005548: DBFE0000 00000002
	ds_read_b128 a[4:7], v2 offset:64                          // 000000005550: DBFE0040 04000002
	v_mfma_f32_16x16x32_fp8_fp8 v[160:163], a[152:153], a[56:57], v[160:163]// 000000005558: D3F300A0 1E827198
	v_mfma_f32_16x16x32_fp8_fp8 v[160:163], a[154:155], a[58:59], v[160:163]// 000000005560: D3F300A0 1E82759A
	buffer_load_dwordx4 a[132:135], v72, s[84:87], 0 offen offset:1024// 000000005568: E05C1400 80958448
	v_mfma_f32_16x16x32_fp8_fp8 v[160:163], a[156:157], a[60:61], v[160:163]// 000000005570: D3F300A0 1E82799C
	v_mfma_f32_16x16x32_fp8_fp8 v[160:163], a[158:159], a[62:63], v[160:163]// 000000005578: D3F300A0 1E827D9E
	ds_read_b128 a[8:11], v2 offset:512                        // 000000005580: DBFE0200 08000002
	ds_read_b128 a[12:15], v2 offset:576                       // 000000005588: DBFE0240 0C000002
	v_mfma_f32_16x16x32_fp8_fp8 v[136:139], a[144:145], a[64:65], v[136:139]// 000000005590: D3F30088 1E228190
	v_mfma_f32_16x16x32_fp8_fp8 v[136:139], a[146:147], a[66:67], v[136:139]// 000000005598: D3F30088 1E228592
	buffer_load_dwordx4 a[136:139], v73, s[84:87], 0 offen     // 0000000055A0: E05C1000 80958849
	v_mfma_f32_16x16x32_fp8_fp8 v[136:139], a[148:149], a[68:69], v[136:139]// 0000000055A8: D3F30088 1E228994
	v_mfma_f32_16x16x32_fp8_fp8 v[136:139], a[150:151], a[70:71], v[136:139]// 0000000055B0: D3F30088 1E228D96
	ds_read_b128 a[16:19], v2 offset:1024                      // 0000000055B8: DBFE0400 10000002
	ds_read_b128 a[20:23], v2 offset:1088                      // 0000000055C0: DBFE0440 14000002
	v_mfma_f32_16x16x32_fp8_fp8 v[164:167], a[152:153], a[64:65], v[164:167]// 0000000055C8: D3F300A4 1E928198
	v_mfma_f32_16x16x32_fp8_fp8 v[164:167], a[154:155], a[66:67], v[164:167]// 0000000055D0: D3F300A4 1E92859A
	buffer_load_dwordx4 a[140:143], v73, s[84:87], 0 offen offset:1024// 0000000055D8: E05C1400 80958C49
	v_mfma_f32_16x16x32_fp8_fp8 v[164:167], a[156:157], a[68:69], v[164:167]// 0000000055E0: D3F300A4 1E92899C
	v_mfma_f32_16x16x32_fp8_fp8 v[164:167], a[158:159], a[70:71], v[164:167]// 0000000055E8: D3F300A4 1E928D9E
	ds_read_b128 a[24:27], v2 offset:1536                      // 0000000055F0: DBFE0600 18000002
	ds_read_b128 a[28:31], v2 offset:1600                      // 0000000055F8: DBFE0640 1C000002
	v_mfma_f32_16x16x32_fp8_fp8 v[140:143], a[144:145], a[72:73], v[140:143]// 000000005600: D3F3008C 1E329190
	v_mfma_f32_16x16x32_fp8_fp8 v[140:143], a[146:147], a[74:75], v[140:143]// 000000005608: D3F3008C 1E329592
	v_mfma_f32_16x16x32_fp8_fp8 v[140:143], a[148:149], a[76:77], v[140:143]// 000000005610: D3F3008C 1E329994
	v_mfma_f32_16x16x32_fp8_fp8 v[140:143], a[150:151], a[78:79], v[140:143]// 000000005618: D3F3008C 1E329D96
	ds_read_b128 a[32:35], v2 offset:2048                      // 000000005620: DBFE0800 20000002
	ds_read_b128 a[36:39], v2 offset:2112                      // 000000005628: DBFE0840 24000002
	v_mfma_f32_16x16x32_fp8_fp8 v[168:171], a[152:153], a[72:73], v[168:171]// 000000005630: D3F300A8 1EA29198
	v_mfma_f32_16x16x32_fp8_fp8 v[168:171], a[154:155], a[74:75], v[168:171]// 000000005638: D3F300A8 1EA2959A
	v_mfma_f32_16x16x32_fp8_fp8 v[168:171], a[156:157], a[76:77], v[168:171]// 000000005640: D3F300A8 1EA2999C
	v_mfma_f32_16x16x32_fp8_fp8 v[168:171], a[158:159], a[78:79], v[168:171]// 000000005648: D3F300A8 1EA29D9E
	ds_read_b128 a[40:43], v2 offset:2560                      // 000000005650: DBFE0A00 28000002
	ds_read_b128 a[44:47], v2 offset:2624                      // 000000005658: DBFE0A40 2C000002
	v_mfma_f32_16x16x32_fp8_fp8 v[144:147], a[144:145], a[80:81], v[144:147]// 000000005660: D3F30090 1E42A190
	v_mfma_f32_16x16x32_fp8_fp8 v[144:147], a[146:147], a[82:83], v[144:147]// 000000005668: D3F30090 1E42A592
	v_mfma_f32_16x16x32_fp8_fp8 v[144:147], a[148:149], a[84:85], v[144:147]// 000000005670: D3F30090 1E42A994
	v_mfma_f32_16x16x32_fp8_fp8 v[144:147], a[150:151], a[86:87], v[144:147]// 000000005678: D3F30090 1E42AD96
	ds_read_b128 a[48:51], v2 offset:3072                      // 000000005680: DBFE0C00 30000002
	ds_read_b128 a[52:55], v2 offset:3136                      // 000000005688: DBFE0C40 34000002
	v_mfma_f32_16x16x32_fp8_fp8 v[172:175], a[152:153], a[80:81], v[172:175]// 000000005690: D3F300AC 1EB2A198
	v_mfma_f32_16x16x32_fp8_fp8 v[172:175], a[154:155], a[82:83], v[172:175]// 000000005698: D3F300AC 1EB2A59A
	v_mfma_f32_16x16x32_fp8_fp8 v[172:175], a[156:157], a[84:85], v[172:175]// 0000000056A0: D3F300AC 1EB2A99C
	v_mfma_f32_16x16x32_fp8_fp8 v[172:175], a[158:159], a[86:87], v[172:175]// 0000000056A8: D3F300AC 1EB2AD9E
	v_mfma_f32_16x16x32_fp8_fp8 v[148:151], a[144:145], a[88:89], v[148:151]// 0000000056B0: D3F30094 1E52B190
	v_mfma_f32_16x16x32_fp8_fp8 v[148:151], a[146:147], a[90:91], v[148:151]// 0000000056B8: D3F30094 1E52B592
	v_mfma_f32_16x16x32_fp8_fp8 v[148:151], a[148:149], a[92:93], v[148:151]// 0000000056C0: D3F30094 1E52B994
	v_mfma_f32_16x16x32_fp8_fp8 v[148:151], a[150:151], a[94:95], v[148:151]// 0000000056C8: D3F30094 1E52BD96
	v_mfma_f32_16x16x32_fp8_fp8 v[176:179], a[152:153], a[88:89], v[176:179]// 0000000056D0: D3F300B0 1EC2B198
	v_mfma_f32_16x16x32_fp8_fp8 v[176:179], a[154:155], a[90:91], v[176:179]// 0000000056D8: D3F300B0 1EC2B59A
	v_mfma_f32_16x16x32_fp8_fp8 v[176:179], a[156:157], a[92:93], v[176:179]// 0000000056E0: D3F300B0 1EC2B99C
	v_mfma_f32_16x16x32_fp8_fp8 v[176:179], a[158:159], a[94:95], v[176:179]// 0000000056E8: D3F300B0 1EC2BD9E
	v_mfma_f32_16x16x32_fp8_fp8 v[152:155], a[144:145], a[96:97], v[152:155]// 0000000056F0: D3F30098 1E62C190
	v_mfma_f32_16x16x32_fp8_fp8 v[152:155], a[146:147], a[98:99], v[152:155]// 0000000056F8: D3F30098 1E62C592
	v_mfma_f32_16x16x32_fp8_fp8 v[152:155], a[148:149], a[100:101], v[152:155]// 000000005700: D3F30098 1E62C994
	v_mfma_f32_16x16x32_fp8_fp8 v[152:155], a[150:151], a[102:103], v[152:155]// 000000005708: D3F30098 1E62CD96
	v_mfma_f32_16x16x32_fp8_fp8 v[180:183], a[152:153], a[96:97], v[180:183]// 000000005710: D3F300B4 1ED2C198
	v_mfma_f32_16x16x32_fp8_fp8 v[180:183], a[154:155], a[98:99], v[180:183]// 000000005718: D3F300B4 1ED2C59A
	v_mfma_f32_16x16x32_fp8_fp8 v[180:183], a[156:157], a[100:101], v[180:183]// 000000005720: D3F300B4 1ED2C99C
	v_mfma_f32_16x16x32_fp8_fp8 v[180:183], a[158:159], a[102:103], v[180:183]// 000000005728: D3F300B4 1ED2CD9E
	v_mfma_f32_16x16x32_fp8_fp8 v[156:159], a[144:145], a[104:105], v[156:159]// 000000005730: D3F3009C 1E72D190
	s_add_u32 s60, 0x180, s80                                  // 000000005738: 803C50FF 00000180
	s_cmp_lt_u32 s60, s81                                      // 000000005740: BF0A513C
	s_cselect_b32 s57, s57, 0                                  // 000000005744: 85398039
	v_mfma_f32_16x16x32_fp8_fp8 v[156:159], a[146:147], a[106:107], v[156:159]// 000000005748: D3F3009C 1E72D592
	s_add_u32 s60, 0x100, s80                                  // 000000005750: 803C50FF 00000100
	s_cmp_lt_u32 s60, s81                                      // 000000005758: BF0A513C
	s_cselect_b32 s58, s58, 0                                  // 00000000575C: 853A803A
	v_mfma_f32_16x16x32_fp8_fp8 v[156:159], a[148:149], a[108:109], v[156:159]// 000000005760: D3F3009C 1E72D994
	s_add_u32 s60, 0x100, s80                                  // 000000005768: 803C50FF 00000100
	s_cmp_lt_u32 s60, s81                                      // 000000005770: BF0A513C
	s_cselect_b32 s83, s83, 0                                  // 000000005774: 85538053
	v_mfma_f32_16x16x32_fp8_fp8 v[156:159], a[150:151], a[110:111], v[156:159]// 000000005778: D3F3009C 1E72DD96
	s_add_u32 s24, s58, s24                                    // 000000005780: 8018183A
	s_addc_u32 s25, 0, s25                                     // 000000005784: 82191980
	v_mfma_f32_16x16x32_fp8_fp8 v[184:187], a[152:153], a[104:105], v[184:187]// 000000005788: D3F300B8 1EE2D198
	s_add_u32 s20, s57, s20                                    // 000000005790: 80141439
	s_addc_u32 s21, 0, s21                                     // 000000005794: 82151580
	v_mfma_f32_16x16x32_fp8_fp8 v[184:187], a[154:155], a[106:107], v[184:187]// 000000005798: D3F300B8 1EE2D59A
	s_add_u32 s84, s83, s84                                    // 0000000057A0: 80545453
	s_addc_u32 s85, 0, s85                                     // 0000000057A4: 82555580
	v_mfma_f32_16x16x32_fp8_fp8 v[184:187], a[156:157], a[108:109], v[184:187]// 0000000057A8: D3F300B8 1EE2D99C
	v_mfma_f32_16x16x32_fp8_fp8 v[184:187], a[158:159], a[110:111], v[184:187]// 0000000057B0: D3F300B8 1EE2DD9E
	s_addk_i32 s80, 0x80                                       // 0000000057B8: B7500080
	s_cmp_lt_i32 s80, s81                                      // 0000000057BC: BF045150
	s_cbranch_scc0 label_0B72                                  // 0000000057C0: BF840001
	s_branch label_034F                                        // 0000000057C4: BF82F7DD

00000000000057c8 <label_0B72>:
	v_mul_f32_dpp v76, v24, v76 row_newbcast:0 row_mask:0xf bank_mask:0xf// 0000000057C8: 0A9898FA FF015018
	v_mul_f32_dpp v77, v24, v77 row_newbcast:1 row_mask:0xf bank_mask:0xf// 0000000057D0: 0A9A9AFA FF015118
	v_mul_f32_dpp v78, v24, v78 row_newbcast:2 row_mask:0xf bank_mask:0xf// 0000000057D8: 0A9C9CFA FF015218
	v_mul_f32_dpp v79, v24, v79 row_newbcast:3 row_mask:0xf bank_mask:0xf// 0000000057E0: 0A9E9EFA FF015318
	v_mul_f32_dpp v80, v24, v80 row_newbcast:0 row_mask:0xf bank_mask:0xf// 0000000057E8: 0AA0A0FA FF015018
	v_mul_f32_dpp v81, v24, v81 row_newbcast:1 row_mask:0xf bank_mask:0xf// 0000000057F0: 0AA2A2FA FF015118
	v_mul_f32_dpp v82, v24, v82 row_newbcast:2 row_mask:0xf bank_mask:0xf// 0000000057F8: 0AA4A4FA FF015218
	v_mul_f32_dpp v83, v24, v83 row_newbcast:3 row_mask:0xf bank_mask:0xf// 000000005800: 0AA6A6FA FF015318
	v_mul_f32_dpp v84, v24, v84 row_newbcast:0 row_mask:0xf bank_mask:0xf// 000000005808: 0AA8A8FA FF015018
	v_mul_f32_dpp v85, v24, v85 row_newbcast:1 row_mask:0xf bank_mask:0xf// 000000005810: 0AAAAAFA FF015118
	v_mul_f32_dpp v86, v24, v86 row_newbcast:2 row_mask:0xf bank_mask:0xf// 000000005818: 0AACACFA FF015218
	v_mul_f32_dpp v87, v24, v87 row_newbcast:3 row_mask:0xf bank_mask:0xf// 000000005820: 0AAEAEFA FF015318
	v_mul_f32_dpp v88, v24, v88 row_newbcast:0 row_mask:0xf bank_mask:0xf// 000000005828: 0AB0B0FA FF015018
	v_mul_f32_dpp v89, v24, v89 row_newbcast:1 row_mask:0xf bank_mask:0xf// 000000005830: 0AB2B2FA FF015118
	v_mul_f32_dpp v90, v24, v90 row_newbcast:2 row_mask:0xf bank_mask:0xf// 000000005838: 0AB4B4FA FF015218
	v_mul_f32_dpp v91, v24, v91 row_newbcast:3 row_mask:0xf bank_mask:0xf// 000000005840: 0AB6B6FA FF015318
	v_mul_f32_dpp v92, v24, v92 row_newbcast:0 row_mask:0xf bank_mask:0xf// 000000005848: 0AB8B8FA FF015018
	v_mul_f32_dpp v93, v24, v93 row_newbcast:1 row_mask:0xf bank_mask:0xf// 000000005850: 0ABABAFA FF015118
	v_mul_f32_dpp v94, v24, v94 row_newbcast:2 row_mask:0xf bank_mask:0xf// 000000005858: 0ABCBCFA FF015218
	v_mul_f32_dpp v95, v24, v95 row_newbcast:3 row_mask:0xf bank_mask:0xf// 000000005860: 0ABEBEFA FF015318
	v_mul_f32_dpp v96, v24, v96 row_newbcast:0 row_mask:0xf bank_mask:0xf// 000000005868: 0AC0C0FA FF015018
	v_mul_f32_dpp v97, v24, v97 row_newbcast:1 row_mask:0xf bank_mask:0xf// 000000005870: 0AC2C2FA FF015118
	v_mul_f32_dpp v98, v24, v98 row_newbcast:2 row_mask:0xf bank_mask:0xf// 000000005878: 0AC4C4FA FF015218
	v_mul_f32_dpp v99, v24, v99 row_newbcast:3 row_mask:0xf bank_mask:0xf// 000000005880: 0AC6C6FA FF015318
	v_mul_f32_dpp v100, v24, v100 row_newbcast:0 row_mask:0xf bank_mask:0xf// 000000005888: 0AC8C8FA FF015018
	v_mul_f32_dpp v101, v24, v101 row_newbcast:1 row_mask:0xf bank_mask:0xf// 000000005890: 0ACACAFA FF015118
	v_mul_f32_dpp v102, v24, v102 row_newbcast:2 row_mask:0xf bank_mask:0xf// 000000005898: 0ACCCCFA FF015218
	v_mul_f32_dpp v103, v24, v103 row_newbcast:3 row_mask:0xf bank_mask:0xf// 0000000058A0: 0ACECEFA FF015318
	v_mul_f32_dpp v104, v24, v104 row_newbcast:4 row_mask:0xf bank_mask:0xf// 0000000058A8: 0AD0D0FA FF015418
	v_mul_f32_dpp v105, v24, v105 row_newbcast:5 row_mask:0xf bank_mask:0xf// 0000000058B0: 0AD2D2FA FF015518
	v_mul_f32_dpp v106, v24, v106 row_newbcast:6 row_mask:0xf bank_mask:0xf// 0000000058B8: 0AD4D4FA FF015618
	v_mul_f32_dpp v107, v24, v107 row_newbcast:7 row_mask:0xf bank_mask:0xf// 0000000058C0: 0AD6D6FA FF015718
	v_mul_f32_dpp v108, v24, v108 row_newbcast:4 row_mask:0xf bank_mask:0xf// 0000000058C8: 0AD8D8FA FF015418
	v_mul_f32_dpp v109, v24, v109 row_newbcast:5 row_mask:0xf bank_mask:0xf// 0000000058D0: 0ADADAFA FF015518
	v_mul_f32_dpp v110, v24, v110 row_newbcast:6 row_mask:0xf bank_mask:0xf// 0000000058D8: 0ADCDCFA FF015618
	v_mul_f32_dpp v111, v24, v111 row_newbcast:7 row_mask:0xf bank_mask:0xf// 0000000058E0: 0ADEDEFA FF015718
	v_mul_f32_dpp v112, v24, v112 row_newbcast:4 row_mask:0xf bank_mask:0xf// 0000000058E8: 0AE0E0FA FF015418
	v_mul_f32_dpp v113, v24, v113 row_newbcast:5 row_mask:0xf bank_mask:0xf// 0000000058F0: 0AE2E2FA FF015518
	v_mul_f32_dpp v114, v24, v114 row_newbcast:6 row_mask:0xf bank_mask:0xf// 0000000058F8: 0AE4E4FA FF015618
	v_mul_f32_dpp v115, v24, v115 row_newbcast:7 row_mask:0xf bank_mask:0xf// 000000005900: 0AE6E6FA FF015718
	v_mul_f32_dpp v116, v24, v116 row_newbcast:4 row_mask:0xf bank_mask:0xf// 000000005908: 0AE8E8FA FF015418
	v_mul_f32_dpp v117, v24, v117 row_newbcast:5 row_mask:0xf bank_mask:0xf// 000000005910: 0AEAEAFA FF015518
	v_mul_f32_dpp v118, v24, v118 row_newbcast:6 row_mask:0xf bank_mask:0xf// 000000005918: 0AECECFA FF015618
	v_mul_f32_dpp v119, v24, v119 row_newbcast:7 row_mask:0xf bank_mask:0xf// 000000005920: 0AEEEEFA FF015718
	v_mul_f32_dpp v120, v24, v120 row_newbcast:4 row_mask:0xf bank_mask:0xf// 000000005928: 0AF0F0FA FF015418
	v_mul_f32_dpp v121, v24, v121 row_newbcast:5 row_mask:0xf bank_mask:0xf// 000000005930: 0AF2F2FA FF015518
	v_mul_f32_dpp v122, v24, v122 row_newbcast:6 row_mask:0xf bank_mask:0xf// 000000005938: 0AF4F4FA FF015618
	v_mul_f32_dpp v123, v24, v123 row_newbcast:7 row_mask:0xf bank_mask:0xf// 000000005940: 0AF6F6FA FF015718
	v_mul_f32_dpp v124, v24, v124 row_newbcast:4 row_mask:0xf bank_mask:0xf// 000000005948: 0AF8F8FA FF015418
	v_mul_f32_dpp v125, v24, v125 row_newbcast:5 row_mask:0xf bank_mask:0xf// 000000005950: 0AFAFAFA FF015518
	v_mul_f32_dpp v126, v24, v126 row_newbcast:6 row_mask:0xf bank_mask:0xf// 000000005958: 0AFCFCFA FF015618
	v_mul_f32_dpp v127, v24, v127 row_newbcast:7 row_mask:0xf bank_mask:0xf// 000000005960: 0AFEFEFA FF015718
	v_mul_f32_dpp v128, v24, v128 row_newbcast:4 row_mask:0xf bank_mask:0xf// 000000005968: 0B0100FA FF015418
	v_mul_f32_dpp v129, v24, v129 row_newbcast:5 row_mask:0xf bank_mask:0xf// 000000005970: 0B0302FA FF015518
	v_mul_f32_dpp v130, v24, v130 row_newbcast:6 row_mask:0xf bank_mask:0xf// 000000005978: 0B0504FA FF015618
	v_mul_f32_dpp v131, v24, v131 row_newbcast:7 row_mask:0xf bank_mask:0xf// 000000005980: 0B0706FA FF015718
	v_mul_f32_dpp v132, v27, v132 row_newbcast:0 row_mask:0xf bank_mask:0xf// 000000005988: 0B0908FA FF01501B
	v_mul_f32_dpp v133, v27, v133 row_newbcast:1 row_mask:0xf bank_mask:0xf// 000000005990: 0B0B0AFA FF01511B
	v_mul_f32_dpp v134, v27, v134 row_newbcast:2 row_mask:0xf bank_mask:0xf// 000000005998: 0B0D0CFA FF01521B
	v_mul_f32_dpp v135, v27, v135 row_newbcast:3 row_mask:0xf bank_mask:0xf// 0000000059A0: 0B0F0EFA FF01531B
	v_mul_f32_dpp v136, v27, v136 row_newbcast:0 row_mask:0xf bank_mask:0xf// 0000000059A8: 0B1110FA FF01501B
	v_mul_f32_dpp v137, v27, v137 row_newbcast:1 row_mask:0xf bank_mask:0xf// 0000000059B0: 0B1312FA FF01511B
	v_mul_f32_dpp v138, v27, v138 row_newbcast:2 row_mask:0xf bank_mask:0xf// 0000000059B8: 0B1514FA FF01521B
	v_mul_f32_dpp v139, v27, v139 row_newbcast:3 row_mask:0xf bank_mask:0xf// 0000000059C0: 0B1716FA FF01531B
	v_mul_f32_dpp v140, v27, v140 row_newbcast:0 row_mask:0xf bank_mask:0xf// 0000000059C8: 0B1918FA FF01501B
	v_mul_f32_dpp v141, v27, v141 row_newbcast:1 row_mask:0xf bank_mask:0xf// 0000000059D0: 0B1B1AFA FF01511B
	v_mul_f32_dpp v142, v27, v142 row_newbcast:2 row_mask:0xf bank_mask:0xf// 0000000059D8: 0B1D1CFA FF01521B
	v_mul_f32_dpp v143, v27, v143 row_newbcast:3 row_mask:0xf bank_mask:0xf// 0000000059E0: 0B1F1EFA FF01531B
	v_mul_f32_dpp v144, v27, v144 row_newbcast:0 row_mask:0xf bank_mask:0xf// 0000000059E8: 0B2120FA FF01501B
	v_mul_f32_dpp v145, v27, v145 row_newbcast:1 row_mask:0xf bank_mask:0xf// 0000000059F0: 0B2322FA FF01511B
	v_mul_f32_dpp v146, v27, v146 row_newbcast:2 row_mask:0xf bank_mask:0xf// 0000000059F8: 0B2524FA FF01521B
	v_mul_f32_dpp v147, v27, v147 row_newbcast:3 row_mask:0xf bank_mask:0xf// 000000005A00: 0B2726FA FF01531B
	v_mul_f32_dpp v148, v27, v148 row_newbcast:0 row_mask:0xf bank_mask:0xf// 000000005A08: 0B2928FA FF01501B
	v_mul_f32_dpp v149, v27, v149 row_newbcast:1 row_mask:0xf bank_mask:0xf// 000000005A10: 0B2B2AFA FF01511B
	v_mul_f32_dpp v150, v27, v150 row_newbcast:2 row_mask:0xf bank_mask:0xf// 000000005A18: 0B2D2CFA FF01521B
	v_mul_f32_dpp v151, v27, v151 row_newbcast:3 row_mask:0xf bank_mask:0xf// 000000005A20: 0B2F2EFA FF01531B
	v_mul_f32_dpp v152, v27, v152 row_newbcast:0 row_mask:0xf bank_mask:0xf// 000000005A28: 0B3130FA FF01501B
	v_mul_f32_dpp v153, v27, v153 row_newbcast:1 row_mask:0xf bank_mask:0xf// 000000005A30: 0B3332FA FF01511B
	v_mul_f32_dpp v154, v27, v154 row_newbcast:2 row_mask:0xf bank_mask:0xf// 000000005A38: 0B3534FA FF01521B
	v_mul_f32_dpp v155, v27, v155 row_newbcast:3 row_mask:0xf bank_mask:0xf// 000000005A40: 0B3736FA FF01531B
	v_mul_f32_dpp v156, v27, v156 row_newbcast:0 row_mask:0xf bank_mask:0xf// 000000005A48: 0B3938FA FF01501B
	v_mul_f32_dpp v157, v27, v157 row_newbcast:1 row_mask:0xf bank_mask:0xf// 000000005A50: 0B3B3AFA FF01511B
	v_mul_f32_dpp v158, v27, v158 row_newbcast:2 row_mask:0xf bank_mask:0xf// 000000005A58: 0B3D3CFA FF01521B
	v_mul_f32_dpp v159, v27, v159 row_newbcast:3 row_mask:0xf bank_mask:0xf// 000000005A60: 0B3F3EFA FF01531B
	v_mul_f32_dpp v160, v27, v160 row_newbcast:4 row_mask:0xf bank_mask:0xf// 000000005A68: 0B4140FA FF01541B
	v_mul_f32_dpp v161, v27, v161 row_newbcast:5 row_mask:0xf bank_mask:0xf// 000000005A70: 0B4342FA FF01551B
	v_mul_f32_dpp v162, v27, v162 row_newbcast:6 row_mask:0xf bank_mask:0xf// 000000005A78: 0B4544FA FF01561B
	v_mul_f32_dpp v163, v27, v163 row_newbcast:7 row_mask:0xf bank_mask:0xf// 000000005A80: 0B4746FA FF01571B
	v_mul_f32_dpp v164, v27, v164 row_newbcast:4 row_mask:0xf bank_mask:0xf// 000000005A88: 0B4948FA FF01541B
	v_mul_f32_dpp v165, v27, v165 row_newbcast:5 row_mask:0xf bank_mask:0xf// 000000005A90: 0B4B4AFA FF01551B
	v_mul_f32_dpp v166, v27, v166 row_newbcast:6 row_mask:0xf bank_mask:0xf// 000000005A98: 0B4D4CFA FF01561B
	v_mul_f32_dpp v167, v27, v167 row_newbcast:7 row_mask:0xf bank_mask:0xf// 000000005AA0: 0B4F4EFA FF01571B
	v_mul_f32_dpp v168, v27, v168 row_newbcast:4 row_mask:0xf bank_mask:0xf// 000000005AA8: 0B5150FA FF01541B
	v_mul_f32_dpp v169, v27, v169 row_newbcast:5 row_mask:0xf bank_mask:0xf// 000000005AB0: 0B5352FA FF01551B
	v_mul_f32_dpp v170, v27, v170 row_newbcast:6 row_mask:0xf bank_mask:0xf// 000000005AB8: 0B5554FA FF01561B
	v_mul_f32_dpp v171, v27, v171 row_newbcast:7 row_mask:0xf bank_mask:0xf// 000000005AC0: 0B5756FA FF01571B
	v_mul_f32_dpp v172, v27, v172 row_newbcast:4 row_mask:0xf bank_mask:0xf// 000000005AC8: 0B5958FA FF01541B
	v_mul_f32_dpp v173, v27, v173 row_newbcast:5 row_mask:0xf bank_mask:0xf// 000000005AD0: 0B5B5AFA FF01551B
	v_mul_f32_dpp v174, v27, v174 row_newbcast:6 row_mask:0xf bank_mask:0xf// 000000005AD8: 0B5D5CFA FF01561B
	v_mul_f32_dpp v175, v27, v175 row_newbcast:7 row_mask:0xf bank_mask:0xf// 000000005AE0: 0B5F5EFA FF01571B
	v_mul_f32_dpp v176, v27, v176 row_newbcast:4 row_mask:0xf bank_mask:0xf// 000000005AE8: 0B6160FA FF01541B
	v_mul_f32_dpp v177, v27, v177 row_newbcast:5 row_mask:0xf bank_mask:0xf// 000000005AF0: 0B6362FA FF01551B
	v_mul_f32_dpp v178, v27, v178 row_newbcast:6 row_mask:0xf bank_mask:0xf// 000000005AF8: 0B6564FA FF01561B
	v_mul_f32_dpp v179, v27, v179 row_newbcast:7 row_mask:0xf bank_mask:0xf// 000000005B00: 0B6766FA FF01571B
	v_mul_f32_dpp v180, v27, v180 row_newbcast:4 row_mask:0xf bank_mask:0xf// 000000005B08: 0B6968FA FF01541B
	v_mul_f32_dpp v181, v27, v181 row_newbcast:5 row_mask:0xf bank_mask:0xf// 000000005B10: 0B6B6AFA FF01551B
	v_mul_f32_dpp v182, v27, v182 row_newbcast:6 row_mask:0xf bank_mask:0xf// 000000005B18: 0B6D6CFA FF01561B
	v_mul_f32_dpp v183, v27, v183 row_newbcast:7 row_mask:0xf bank_mask:0xf// 000000005B20: 0B6F6EFA FF01571B
	v_mul_f32_dpp v184, v27, v184 row_newbcast:4 row_mask:0xf bank_mask:0xf// 000000005B28: 0B7170FA FF01541B
	v_mul_f32_dpp v185, v27, v185 row_newbcast:5 row_mask:0xf bank_mask:0xf// 000000005B30: 0B7372FA FF01551B
	v_mul_f32_dpp v186, v27, v186 row_newbcast:6 row_mask:0xf bank_mask:0xf// 000000005B38: 0B7574FA FF01561B
	v_mul_f32_dpp v187, v27, v187 row_newbcast:7 row_mask:0xf bank_mask:0xf// 000000005B40: 0B7776FA FF01571B
	v_mov_b32_e32 v4, v37                                      // 000000005B48: 7E080325
	v_mov_b32_e32 v5, v4                                       // 000000005B4C: 7E0A0304
	v_pk_mul_f32 v[76:77], v[4:5], v[76:77]                    // 000000005B50: D3B1404C 18029904
	v_pk_mul_f32 v[132:133], v[4:5], v[132:133]                // 000000005B58: D3B14084 18030904
	v_pk_mul_f32 v[78:79], v[4:5], v[78:79]                    // 000000005B60: D3B1404E 18029D04
	v_pk_mul_f32 v[134:135], v[4:5], v[134:135]                // 000000005B68: D3B14086 18030D04
	v_pk_mul_f32 v[104:105], v[4:5], v[104:105]                // 000000005B70: D3B14068 1802D104
	v_pk_mul_f32 v[160:161], v[4:5], v[160:161]                // 000000005B78: D3B140A0 18034104
	v_pk_mul_f32 v[106:107], v[4:5], v[106:107]                // 000000005B80: D3B1406A 1802D504
	v_pk_mul_f32 v[162:163], v[4:5], v[162:163]                // 000000005B88: D3B140A2 18034504
	v_mov_b32_e32 v4, v38                                      // 000000005B90: 7E080326
	v_mov_b32_e32 v5, v4                                       // 000000005B94: 7E0A0304
	v_pk_mul_f32 v[80:81], v[4:5], v[80:81]                    // 000000005B98: D3B14050 1802A104
	v_pk_mul_f32 v[136:137], v[4:5], v[136:137]                // 000000005BA0: D3B14088 18031104
	v_pk_mul_f32 v[82:83], v[4:5], v[82:83]                    // 000000005BA8: D3B14052 1802A504
	v_pk_mul_f32 v[138:139], v[4:5], v[138:139]                // 000000005BB0: D3B1408A 18031504
	v_pk_mul_f32 v[108:109], v[4:5], v[108:109]                // 000000005BB8: D3B1406C 1802D904
	v_pk_mul_f32 v[164:165], v[4:5], v[164:165]                // 000000005BC0: D3B140A4 18034904
	v_pk_mul_f32 v[110:111], v[4:5], v[110:111]                // 000000005BC8: D3B1406E 1802DD04
	v_pk_mul_f32 v[166:167], v[4:5], v[166:167]                // 000000005BD0: D3B140A6 18034D04
	v_mov_b32_e32 v4, v39                                      // 000000005BD8: 7E080327
	v_mov_b32_e32 v5, v4                                       // 000000005BDC: 7E0A0304
	v_pk_mul_f32 v[84:85], v[4:5], v[84:85]                    // 000000005BE0: D3B14054 1802A904
	v_pk_mul_f32 v[140:141], v[4:5], v[140:141]                // 000000005BE8: D3B1408C 18031904
	v_pk_mul_f32 v[86:87], v[4:5], v[86:87]                    // 000000005BF0: D3B14056 1802AD04
	v_pk_mul_f32 v[142:143], v[4:5], v[142:143]                // 000000005BF8: D3B1408E 18031D04
	v_pk_mul_f32 v[112:113], v[4:5], v[112:113]                // 000000005C00: D3B14070 1802E104
	v_pk_mul_f32 v[168:169], v[4:5], v[168:169]                // 000000005C08: D3B140A8 18035104
	v_pk_mul_f32 v[114:115], v[4:5], v[114:115]                // 000000005C10: D3B14072 1802E504
	v_pk_mul_f32 v[170:171], v[4:5], v[170:171]                // 000000005C18: D3B140AA 18035504
	v_mov_b32_e32 v4, v40                                      // 000000005C20: 7E080328
	v_mov_b32_e32 v5, v4                                       // 000000005C24: 7E0A0304
	v_pk_mul_f32 v[88:89], v[4:5], v[88:89]                    // 000000005C28: D3B14058 1802B104
	v_pk_mul_f32 v[144:145], v[4:5], v[144:145]                // 000000005C30: D3B14090 18032104
	v_pk_mul_f32 v[90:91], v[4:5], v[90:91]                    // 000000005C38: D3B1405A 1802B504
	v_pk_mul_f32 v[146:147], v[4:5], v[146:147]                // 000000005C40: D3B14092 18032504
	v_pk_mul_f32 v[116:117], v[4:5], v[116:117]                // 000000005C48: D3B14074 1802E904
	v_pk_mul_f32 v[172:173], v[4:5], v[172:173]                // 000000005C50: D3B140AC 18035904
	v_pk_mul_f32 v[118:119], v[4:5], v[118:119]                // 000000005C58: D3B14076 1802ED04
	v_pk_mul_f32 v[174:175], v[4:5], v[174:175]                // 000000005C60: D3B140AE 18035D04
	v_mov_b32_e32 v4, v41                                      // 000000005C68: 7E080329
	v_mov_b32_e32 v5, v4                                       // 000000005C6C: 7E0A0304
	v_pk_mul_f32 v[92:93], v[4:5], v[92:93]                    // 000000005C70: D3B1405C 1802B904
	v_pk_mul_f32 v[148:149], v[4:5], v[148:149]                // 000000005C78: D3B14094 18032904
	v_pk_mul_f32 v[94:95], v[4:5], v[94:95]                    // 000000005C80: D3B1405E 1802BD04
	v_pk_mul_f32 v[150:151], v[4:5], v[150:151]                // 000000005C88: D3B14096 18032D04
	v_pk_mul_f32 v[120:121], v[4:5], v[120:121]                // 000000005C90: D3B14078 1802F104
	v_pk_mul_f32 v[176:177], v[4:5], v[176:177]                // 000000005C98: D3B140B0 18036104
	v_pk_mul_f32 v[122:123], v[4:5], v[122:123]                // 000000005CA0: D3B1407A 1802F504
	v_pk_mul_f32 v[178:179], v[4:5], v[178:179]                // 000000005CA8: D3B140B2 18036504
	v_mov_b32_e32 v4, v42                                      // 000000005CB0: 7E08032A
	v_mov_b32_e32 v5, v4                                       // 000000005CB4: 7E0A0304
	v_pk_mul_f32 v[96:97], v[4:5], v[96:97]                    // 000000005CB8: D3B14060 1802C104
	v_pk_mul_f32 v[152:153], v[4:5], v[152:153]                // 000000005CC0: D3B14098 18033104
	v_pk_mul_f32 v[98:99], v[4:5], v[98:99]                    // 000000005CC8: D3B14062 1802C504
	v_pk_mul_f32 v[154:155], v[4:5], v[154:155]                // 000000005CD0: D3B1409A 18033504
	v_pk_mul_f32 v[124:125], v[4:5], v[124:125]                // 000000005CD8: D3B1407C 1802F904
	v_pk_mul_f32 v[180:181], v[4:5], v[180:181]                // 000000005CE0: D3B140B4 18036904
	v_pk_mul_f32 v[126:127], v[4:5], v[126:127]                // 000000005CE8: D3B1407E 1802FD04
	v_pk_mul_f32 v[182:183], v[4:5], v[182:183]                // 000000005CF0: D3B140B6 18036D04
	v_mov_b32_e32 v4, v43                                      // 000000005CF8: 7E08032B
	v_mov_b32_e32 v5, v4                                       // 000000005CFC: 7E0A0304
	v_pk_mul_f32 v[100:101], v[4:5], v[100:101]                // 000000005D00: D3B14064 1802C904
	v_pk_mul_f32 v[156:157], v[4:5], v[156:157]                // 000000005D08: D3B1409C 18033904
	v_pk_mul_f32 v[102:103], v[4:5], v[102:103]                // 000000005D10: D3B14066 1802CD04
	v_pk_mul_f32 v[158:159], v[4:5], v[158:159]                // 000000005D18: D3B1409E 18033D04
	v_pk_mul_f32 v[128:129], v[4:5], v[128:129]                // 000000005D20: D3B14080 18030104
	v_pk_mul_f32 v[184:185], v[4:5], v[184:185]                // 000000005D28: D3B140B8 18037104
	v_pk_mul_f32 v[130:131], v[4:5], v[130:131]                // 000000005D30: D3B14082 18030504
	v_pk_mul_f32 v[186:187], v[4:5], v[186:187]                // 000000005D38: D3B140BA 18037504
	s_cmp_eq_u32 s88, 0                                        // 000000005D40: BF068058
	s_cbranch_scc0 label_150B                                  // 000000005D44: BF840839
	s_cmp_eq_u32 s89, 0                                        // 000000005D48: BF068059
	s_cbranch_scc1 label_0F09                                  // 000000005D4C: BF850235
	v_mov_b32_e32 v8, v1                                       // 000000005D50: 7E100301
	v_mov_b32_e32 v9, v1                                       // 000000005D54: 7E120301
	s_mov_b32 s60, s6                                          // 000000005D58: BEBC0006
	s_mov_b32 s61, s6                                          // 000000005D5C: BEBD0006
	v_pk_mul_f32 v[4:5], v[76:77], v[76:77]                    // 000000005D60: D3B14004 1802994C
	v_pk_mul_f32 v[6:7], v[78:79], v[78:79]                    // 000000005D68: D3B14006 18029D4E
	v_pk_fma_f32 v[4:5], v[4:5], s[78:79], v[8:9]              // 000000005D70: D3B04004 1C209D04
	v_pk_fma_f32 v[6:7], v[6:7], s[78:79], v[8:9]              // 000000005D78: D3B04006 1C209D06
	v_pk_mul_f32 v[4:5], v[4:5], v[76:77]                      // 000000005D80: D3B14004 18029904
	v_pk_mul_f32 v[6:7], v[6:7], v[78:79]                      // 000000005D88: D3B14006 18029D06
	v_pk_mul_f32 v[4:5], v[4:5], s[60:61]                      // 000000005D90: D3B14004 18007904
	v_pk_mul_f32 v[6:7], v[6:7], s[60:61]                      // 000000005D98: D3B14006 18007906
	v_exp_f32_e32 v4, v4                                       // 000000005DA0: 7E084104
	v_exp_f32_e32 v5, v5                                       // 000000005DA4: 7E0A4105
	v_exp_f32_e32 v6, v6                                       // 000000005DA8: 7E0C4106
	v_exp_f32_e32 v7, v7                                       // 000000005DAC: 7E0E4107
	v_add_f32_e64 v4, v4, 1.0                                  // 000000005DB0: D1010004 0001E504
	v_add_f32_e64 v5, v5, 1.0                                  // 000000005DB8: D1010005 0001E505
	v_add_f32_e64 v6, v6, 1.0                                  // 000000005DC0: D1010006 0001E506
	v_add_f32_e64 v7, v7, 1.0                                  // 000000005DC8: D1010007 0001E507
	v_rcp_f32_e32 v4, v4                                       // 000000005DD0: 7E084504
	v_rcp_f32_e32 v5, v5                                       // 000000005DD4: 7E0A4505
	v_rcp_f32_e32 v6, v6                                       // 000000005DD8: 7E0C4506
	v_rcp_f32_e32 v7, v7                                       // 000000005DDC: 7E0E4507
	v_mul_f32_e32 v76, v76, v4                                 // 000000005DE0: 0A98094C
	v_mul_f32_e32 v77, v77, v5                                 // 000000005DE4: 0A9A0B4D
	v_mul_f32_e32 v78, v78, v6                                 // 000000005DE8: 0A9C0D4E
	v_mul_f32_e32 v79, v79, v7                                 // 000000005DEC: 0A9E0F4F
	v_mul_f32_e32 v76, v76, v132                               // 000000005DF0: 0A99094C
	v_mul_f32_e32 v77, v77, v133                               // 000000005DF4: 0A9B0B4D
	v_mul_f32_e32 v78, v78, v134                               // 000000005DF8: 0A9D0D4E
	v_mul_f32_e32 v79, v79, v135                               // 000000005DFC: 0A9F0F4F
	v_pk_mul_f32 v[4:5], v[80:81], v[80:81]                    // 000000005E00: D3B14004 1802A150
	v_pk_mul_f32 v[6:7], v[82:83], v[82:83]                    // 000000005E08: D3B14006 1802A552
	v_pk_fma_f32 v[4:5], v[4:5], s[78:79], v[8:9]              // 000000005E10: D3B04004 1C209D04
	v_pk_fma_f32 v[6:7], v[6:7], s[78:79], v[8:9]              // 000000005E18: D3B04006 1C209D06
	v_pk_mul_f32 v[4:5], v[4:5], v[80:81]                      // 000000005E20: D3B14004 1802A104
	v_pk_mul_f32 v[6:7], v[6:7], v[82:83]                      // 000000005E28: D3B14006 1802A506
	v_pk_mul_f32 v[4:5], v[4:5], s[60:61]                      // 000000005E30: D3B14004 18007904
	v_pk_mul_f32 v[6:7], v[6:7], s[60:61]                      // 000000005E38: D3B14006 18007906
	v_exp_f32_e32 v4, v4                                       // 000000005E40: 7E084104
	v_exp_f32_e32 v5, v5                                       // 000000005E44: 7E0A4105
	v_exp_f32_e32 v6, v6                                       // 000000005E48: 7E0C4106
	v_exp_f32_e32 v7, v7                                       // 000000005E4C: 7E0E4107
	v_add_f32_e64 v4, v4, 1.0                                  // 000000005E50: D1010004 0001E504
	v_add_f32_e64 v5, v5, 1.0                                  // 000000005E58: D1010005 0001E505
	v_add_f32_e64 v6, v6, 1.0                                  // 000000005E60: D1010006 0001E506
	v_add_f32_e64 v7, v7, 1.0                                  // 000000005E68: D1010007 0001E507
	v_rcp_f32_e32 v4, v4                                       // 000000005E70: 7E084504
	v_rcp_f32_e32 v5, v5                                       // 000000005E74: 7E0A4505
	v_rcp_f32_e32 v6, v6                                       // 000000005E78: 7E0C4506
	v_rcp_f32_e32 v7, v7                                       // 000000005E7C: 7E0E4507
	v_mul_f32_e32 v80, v80, v4                                 // 000000005E80: 0AA00950
	v_mul_f32_e32 v81, v81, v5                                 // 000000005E84: 0AA20B51
	v_mul_f32_e32 v82, v82, v6                                 // 000000005E88: 0AA40D52
	v_mul_f32_e32 v83, v83, v7                                 // 000000005E8C: 0AA60F53
	v_mul_f32_e32 v80, v80, v136                               // 000000005E90: 0AA11150
	v_mul_f32_e32 v81, v81, v137                               // 000000005E94: 0AA31351
	v_mul_f32_e32 v82, v82, v138                               // 000000005E98: 0AA51552
	v_mul_f32_e32 v83, v83, v139                               // 000000005E9C: 0AA71753
	v_pk_mul_f32 v[4:5], v[84:85], v[84:85]                    // 000000005EA0: D3B14004 1802A954
	v_pk_mul_f32 v[6:7], v[86:87], v[86:87]                    // 000000005EA8: D3B14006 1802AD56
	v_pk_fma_f32 v[4:5], v[4:5], s[78:79], v[8:9]              // 000000005EB0: D3B04004 1C209D04
	v_pk_fma_f32 v[6:7], v[6:7], s[78:79], v[8:9]              // 000000005EB8: D3B04006 1C209D06
	v_pk_mul_f32 v[4:5], v[4:5], v[84:85]                      // 000000005EC0: D3B14004 1802A904
	v_pk_mul_f32 v[6:7], v[6:7], v[86:87]                      // 000000005EC8: D3B14006 1802AD06
	v_pk_mul_f32 v[4:5], v[4:5], s[60:61]                      // 000000005ED0: D3B14004 18007904
	v_pk_mul_f32 v[6:7], v[6:7], s[60:61]                      // 000000005ED8: D3B14006 18007906
	v_exp_f32_e32 v4, v4                                       // 000000005EE0: 7E084104
	v_exp_f32_e32 v5, v5                                       // 000000005EE4: 7E0A4105
	v_exp_f32_e32 v6, v6                                       // 000000005EE8: 7E0C4106
	v_exp_f32_e32 v7, v7                                       // 000000005EEC: 7E0E4107
	v_add_f32_e64 v4, v4, 1.0                                  // 000000005EF0: D1010004 0001E504
	v_add_f32_e64 v5, v5, 1.0                                  // 000000005EF8: D1010005 0001E505
	v_add_f32_e64 v6, v6, 1.0                                  // 000000005F00: D1010006 0001E506
	v_add_f32_e64 v7, v7, 1.0                                  // 000000005F08: D1010007 0001E507
	v_rcp_f32_e32 v4, v4                                       // 000000005F10: 7E084504
	v_rcp_f32_e32 v5, v5                                       // 000000005F14: 7E0A4505
	v_rcp_f32_e32 v6, v6                                       // 000000005F18: 7E0C4506
	v_rcp_f32_e32 v7, v7                                       // 000000005F1C: 7E0E4507
	v_mul_f32_e32 v84, v84, v4                                 // 000000005F20: 0AA80954
	v_mul_f32_e32 v85, v85, v5                                 // 000000005F24: 0AAA0B55
	v_mul_f32_e32 v86, v86, v6                                 // 000000005F28: 0AAC0D56
	v_mul_f32_e32 v87, v87, v7                                 // 000000005F2C: 0AAE0F57
	v_mul_f32_e32 v84, v84, v140                               // 000000005F30: 0AA91954
	v_mul_f32_e32 v85, v85, v141                               // 000000005F34: 0AAB1B55
	v_mul_f32_e32 v86, v86, v142                               // 000000005F38: 0AAD1D56
	v_mul_f32_e32 v87, v87, v143                               // 000000005F3C: 0AAF1F57
	v_pk_mul_f32 v[4:5], v[88:89], v[88:89]                    // 000000005F40: D3B14004 1802B158
	v_pk_mul_f32 v[6:7], v[90:91], v[90:91]                    // 000000005F48: D3B14006 1802B55A
	v_pk_fma_f32 v[4:5], v[4:5], s[78:79], v[8:9]              // 000000005F50: D3B04004 1C209D04
	v_pk_fma_f32 v[6:7], v[6:7], s[78:79], v[8:9]              // 000000005F58: D3B04006 1C209D06
	v_pk_mul_f32 v[4:5], v[4:5], v[88:89]                      // 000000005F60: D3B14004 1802B104
	v_pk_mul_f32 v[6:7], v[6:7], v[90:91]                      // 000000005F68: D3B14006 1802B506
	v_pk_mul_f32 v[4:5], v[4:5], s[60:61]                      // 000000005F70: D3B14004 18007904
	v_pk_mul_f32 v[6:7], v[6:7], s[60:61]                      // 000000005F78: D3B14006 18007906
	v_exp_f32_e32 v4, v4                                       // 000000005F80: 7E084104
	v_exp_f32_e32 v5, v5                                       // 000000005F84: 7E0A4105
	v_exp_f32_e32 v6, v6                                       // 000000005F88: 7E0C4106
	v_exp_f32_e32 v7, v7                                       // 000000005F8C: 7E0E4107
	v_add_f32_e64 v4, v4, 1.0                                  // 000000005F90: D1010004 0001E504
	v_add_f32_e64 v5, v5, 1.0                                  // 000000005F98: D1010005 0001E505
	v_add_f32_e64 v6, v6, 1.0                                  // 000000005FA0: D1010006 0001E506
	v_add_f32_e64 v7, v7, 1.0                                  // 000000005FA8: D1010007 0001E507
	v_rcp_f32_e32 v4, v4                                       // 000000005FB0: 7E084504
	v_rcp_f32_e32 v5, v5                                       // 000000005FB4: 7E0A4505
	v_rcp_f32_e32 v6, v6                                       // 000000005FB8: 7E0C4506
	v_rcp_f32_e32 v7, v7                                       // 000000005FBC: 7E0E4507
	v_mul_f32_e32 v88, v88, v4                                 // 000000005FC0: 0AB00958
	v_mul_f32_e32 v89, v89, v5                                 // 000000005FC4: 0AB20B59
	v_mul_f32_e32 v90, v90, v6                                 // 000000005FC8: 0AB40D5A
	v_mul_f32_e32 v91, v91, v7                                 // 000000005FCC: 0AB60F5B
	v_mul_f32_e32 v88, v88, v144                               // 000000005FD0: 0AB12158
	v_mul_f32_e32 v89, v89, v145                               // 000000005FD4: 0AB32359
	v_mul_f32_e32 v90, v90, v146                               // 000000005FD8: 0AB5255A
	v_mul_f32_e32 v91, v91, v147                               // 000000005FDC: 0AB7275B
	v_pk_mul_f32 v[4:5], v[92:93], v[92:93]                    // 000000005FE0: D3B14004 1802B95C
	v_pk_mul_f32 v[6:7], v[94:95], v[94:95]                    // 000000005FE8: D3B14006 1802BD5E
	v_pk_fma_f32 v[4:5], v[4:5], s[78:79], v[8:9]              // 000000005FF0: D3B04004 1C209D04
	v_pk_fma_f32 v[6:7], v[6:7], s[78:79], v[8:9]              // 000000005FF8: D3B04006 1C209D06
	v_pk_mul_f32 v[4:5], v[4:5], v[92:93]                      // 000000006000: D3B14004 1802B904
	v_pk_mul_f32 v[6:7], v[6:7], v[94:95]                      // 000000006008: D3B14006 1802BD06
	v_pk_mul_f32 v[4:5], v[4:5], s[60:61]                      // 000000006010: D3B14004 18007904
	v_pk_mul_f32 v[6:7], v[6:7], s[60:61]                      // 000000006018: D3B14006 18007906
	v_exp_f32_e32 v4, v4                                       // 000000006020: 7E084104
	v_exp_f32_e32 v5, v5                                       // 000000006024: 7E0A4105
	v_exp_f32_e32 v6, v6                                       // 000000006028: 7E0C4106
	v_exp_f32_e32 v7, v7                                       // 00000000602C: 7E0E4107
	v_add_f32_e64 v4, v4, 1.0                                  // 000000006030: D1010004 0001E504
	v_add_f32_e64 v5, v5, 1.0                                  // 000000006038: D1010005 0001E505
	v_add_f32_e64 v6, v6, 1.0                                  // 000000006040: D1010006 0001E506
	v_add_f32_e64 v7, v7, 1.0                                  // 000000006048: D1010007 0001E507
	v_rcp_f32_e32 v4, v4                                       // 000000006050: 7E084504
	v_rcp_f32_e32 v5, v5                                       // 000000006054: 7E0A4505
	v_rcp_f32_e32 v6, v6                                       // 000000006058: 7E0C4506
	v_rcp_f32_e32 v7, v7                                       // 00000000605C: 7E0E4507
	v_mul_f32_e32 v92, v92, v4                                 // 000000006060: 0AB8095C
	v_mul_f32_e32 v93, v93, v5                                 // 000000006064: 0ABA0B5D
	v_mul_f32_e32 v94, v94, v6                                 // 000000006068: 0ABC0D5E
	v_mul_f32_e32 v95, v95, v7                                 // 00000000606C: 0ABE0F5F
	v_mul_f32_e32 v92, v92, v148                               // 000000006070: 0AB9295C
	v_mul_f32_e32 v93, v93, v149                               // 000000006074: 0ABB2B5D
	v_mul_f32_e32 v94, v94, v150                               // 000000006078: 0ABD2D5E
	v_mul_f32_e32 v95, v95, v151                               // 00000000607C: 0ABF2F5F
	v_pk_mul_f32 v[4:5], v[96:97], v[96:97]                    // 000000006080: D3B14004 1802C160
	v_pk_mul_f32 v[6:7], v[98:99], v[98:99]                    // 000000006088: D3B14006 1802C562
	v_pk_fma_f32 v[4:5], v[4:5], s[78:79], v[8:9]              // 000000006090: D3B04004 1C209D04
	v_pk_fma_f32 v[6:7], v[6:7], s[78:79], v[8:9]              // 000000006098: D3B04006 1C209D06
	v_pk_mul_f32 v[4:5], v[4:5], v[96:97]                      // 0000000060A0: D3B14004 1802C104
	v_pk_mul_f32 v[6:7], v[6:7], v[98:99]                      // 0000000060A8: D3B14006 1802C506
	v_pk_mul_f32 v[4:5], v[4:5], s[60:61]                      // 0000000060B0: D3B14004 18007904
	v_pk_mul_f32 v[6:7], v[6:7], s[60:61]                      // 0000000060B8: D3B14006 18007906
	v_exp_f32_e32 v4, v4                                       // 0000000060C0: 7E084104
	v_exp_f32_e32 v5, v5                                       // 0000000060C4: 7E0A4105
	v_exp_f32_e32 v6, v6                                       // 0000000060C8: 7E0C4106
	v_exp_f32_e32 v7, v7                                       // 0000000060CC: 7E0E4107
	v_add_f32_e64 v4, v4, 1.0                                  // 0000000060D0: D1010004 0001E504
	v_add_f32_e64 v5, v5, 1.0                                  // 0000000060D8: D1010005 0001E505
	v_add_f32_e64 v6, v6, 1.0                                  // 0000000060E0: D1010006 0001E506
	v_add_f32_e64 v7, v7, 1.0                                  // 0000000060E8: D1010007 0001E507
	v_rcp_f32_e32 v4, v4                                       // 0000000060F0: 7E084504
	v_rcp_f32_e32 v5, v5                                       // 0000000060F4: 7E0A4505
	v_rcp_f32_e32 v6, v6                                       // 0000000060F8: 7E0C4506
	v_rcp_f32_e32 v7, v7                                       // 0000000060FC: 7E0E4507
	v_mul_f32_e32 v96, v96, v4                                 // 000000006100: 0AC00960
	v_mul_f32_e32 v97, v97, v5                                 // 000000006104: 0AC20B61
	v_mul_f32_e32 v98, v98, v6                                 // 000000006108: 0AC40D62
	v_mul_f32_e32 v99, v99, v7                                 // 00000000610C: 0AC60F63
	v_mul_f32_e32 v96, v96, v152                               // 000000006110: 0AC13160
	v_mul_f32_e32 v97, v97, v153                               // 000000006114: 0AC33361
	v_mul_f32_e32 v98, v98, v154                               // 000000006118: 0AC53562
	v_mul_f32_e32 v99, v99, v155                               // 00000000611C: 0AC73763
	v_pk_mul_f32 v[4:5], v[100:101], v[100:101]                // 000000006120: D3B14004 1802C964
	v_pk_mul_f32 v[6:7], v[102:103], v[102:103]                // 000000006128: D3B14006 1802CD66
	v_pk_fma_f32 v[4:5], v[4:5], s[78:79], v[8:9]              // 000000006130: D3B04004 1C209D04
	v_pk_fma_f32 v[6:7], v[6:7], s[78:79], v[8:9]              // 000000006138: D3B04006 1C209D06
	v_pk_mul_f32 v[4:5], v[4:5], v[100:101]                    // 000000006140: D3B14004 1802C904
	v_pk_mul_f32 v[6:7], v[6:7], v[102:103]                    // 000000006148: D3B14006 1802CD06
	v_pk_mul_f32 v[4:5], v[4:5], s[60:61]                      // 000000006150: D3B14004 18007904
	v_pk_mul_f32 v[6:7], v[6:7], s[60:61]                      // 000000006158: D3B14006 18007906
	v_exp_f32_e32 v4, v4                                       // 000000006160: 7E084104
	v_exp_f32_e32 v5, v5                                       // 000000006164: 7E0A4105
	v_exp_f32_e32 v6, v6                                       // 000000006168: 7E0C4106
	v_exp_f32_e32 v7, v7                                       // 00000000616C: 7E0E4107
	v_add_f32_e64 v4, v4, 1.0                                  // 000000006170: D1010004 0001E504
	v_add_f32_e64 v5, v5, 1.0                                  // 000000006178: D1010005 0001E505
	v_add_f32_e64 v6, v6, 1.0                                  // 000000006180: D1010006 0001E506
	v_add_f32_e64 v7, v7, 1.0                                  // 000000006188: D1010007 0001E507
	v_rcp_f32_e32 v4, v4                                       // 000000006190: 7E084504
	v_rcp_f32_e32 v5, v5                                       // 000000006194: 7E0A4505
	v_rcp_f32_e32 v6, v6                                       // 000000006198: 7E0C4506
	v_rcp_f32_e32 v7, v7                                       // 00000000619C: 7E0E4507
	v_mul_f32_e32 v100, v100, v4                               // 0000000061A0: 0AC80964
	v_mul_f32_e32 v101, v101, v5                               // 0000000061A4: 0ACA0B65
	v_mul_f32_e32 v102, v102, v6                               // 0000000061A8: 0ACC0D66
	v_mul_f32_e32 v103, v103, v7                               // 0000000061AC: 0ACE0F67
	v_mul_f32_e32 v100, v100, v156                             // 0000000061B0: 0AC93964
	v_mul_f32_e32 v101, v101, v157                             // 0000000061B4: 0ACB3B65
	v_mul_f32_e32 v102, v102, v158                             // 0000000061B8: 0ACD3D66
	v_mul_f32_e32 v103, v103, v159                             // 0000000061BC: 0ACF3F67
	v_pk_mul_f32 v[4:5], v[104:105], v[104:105]                // 0000000061C0: D3B14004 1802D168
	v_pk_mul_f32 v[6:7], v[106:107], v[106:107]                // 0000000061C8: D3B14006 1802D56A
	v_pk_fma_f32 v[4:5], v[4:5], s[78:79], v[8:9]              // 0000000061D0: D3B04004 1C209D04
	v_pk_fma_f32 v[6:7], v[6:7], s[78:79], v[8:9]              // 0000000061D8: D3B04006 1C209D06
	v_pk_mul_f32 v[4:5], v[4:5], v[104:105]                    // 0000000061E0: D3B14004 1802D104
	v_pk_mul_f32 v[6:7], v[6:7], v[106:107]                    // 0000000061E8: D3B14006 1802D506
	v_pk_mul_f32 v[4:5], v[4:5], s[60:61]                      // 0000000061F0: D3B14004 18007904
	v_pk_mul_f32 v[6:7], v[6:7], s[60:61]                      // 0000000061F8: D3B14006 18007906
	v_exp_f32_e32 v4, v4                                       // 000000006200: 7E084104
	v_exp_f32_e32 v5, v5                                       // 000000006204: 7E0A4105
	v_exp_f32_e32 v6, v6                                       // 000000006208: 7E0C4106
	v_exp_f32_e32 v7, v7                                       // 00000000620C: 7E0E4107
	v_add_f32_e64 v4, v4, 1.0                                  // 000000006210: D1010004 0001E504
	v_add_f32_e64 v5, v5, 1.0                                  // 000000006218: D1010005 0001E505
	v_add_f32_e64 v6, v6, 1.0                                  // 000000006220: D1010006 0001E506
	v_add_f32_e64 v7, v7, 1.0                                  // 000000006228: D1010007 0001E507
	v_rcp_f32_e32 v4, v4                                       // 000000006230: 7E084504
	v_rcp_f32_e32 v5, v5                                       // 000000006234: 7E0A4505
	v_rcp_f32_e32 v6, v6                                       // 000000006238: 7E0C4506
	v_rcp_f32_e32 v7, v7                                       // 00000000623C: 7E0E4507
	v_mul_f32_e32 v104, v104, v4                               // 000000006240: 0AD00968
	v_mul_f32_e32 v105, v105, v5                               // 000000006244: 0AD20B69
	v_mul_f32_e32 v106, v106, v6                               // 000000006248: 0AD40D6A
	v_mul_f32_e32 v107, v107, v7                               // 00000000624C: 0AD60F6B
	v_mul_f32_e32 v104, v104, v160                             // 000000006250: 0AD14168
	v_mul_f32_e32 v105, v105, v161                             // 000000006254: 0AD34369
	v_mul_f32_e32 v106, v106, v162                             // 000000006258: 0AD5456A
	v_mul_f32_e32 v107, v107, v163                             // 00000000625C: 0AD7476B
	v_pk_mul_f32 v[4:5], v[108:109], v[108:109]                // 000000006260: D3B14004 1802D96C
	v_pk_mul_f32 v[6:7], v[110:111], v[110:111]                // 000000006268: D3B14006 1802DD6E
	v_pk_fma_f32 v[4:5], v[4:5], s[78:79], v[8:9]              // 000000006270: D3B04004 1C209D04
	v_pk_fma_f32 v[6:7], v[6:7], s[78:79], v[8:9]              // 000000006278: D3B04006 1C209D06
	v_pk_mul_f32 v[4:5], v[4:5], v[108:109]                    // 000000006280: D3B14004 1802D904
	v_pk_mul_f32 v[6:7], v[6:7], v[110:111]                    // 000000006288: D3B14006 1802DD06
	v_pk_mul_f32 v[4:5], v[4:5], s[60:61]                      // 000000006290: D3B14004 18007904
	v_pk_mul_f32 v[6:7], v[6:7], s[60:61]                      // 000000006298: D3B14006 18007906
	v_exp_f32_e32 v4, v4                                       // 0000000062A0: 7E084104
	v_exp_f32_e32 v5, v5                                       // 0000000062A4: 7E0A4105
	v_exp_f32_e32 v6, v6                                       // 0000000062A8: 7E0C4106
	v_exp_f32_e32 v7, v7                                       // 0000000062AC: 7E0E4107
	v_add_f32_e64 v4, v4, 1.0                                  // 0000000062B0: D1010004 0001E504
	v_add_f32_e64 v5, v5, 1.0                                  // 0000000062B8: D1010005 0001E505
	v_add_f32_e64 v6, v6, 1.0                                  // 0000000062C0: D1010006 0001E506
	v_add_f32_e64 v7, v7, 1.0                                  // 0000000062C8: D1010007 0001E507
	v_rcp_f32_e32 v4, v4                                       // 0000000062D0: 7E084504
	v_rcp_f32_e32 v5, v5                                       // 0000000062D4: 7E0A4505
	v_rcp_f32_e32 v6, v6                                       // 0000000062D8: 7E0C4506
	v_rcp_f32_e32 v7, v7                                       // 0000000062DC: 7E0E4507
	v_mul_f32_e32 v108, v108, v4                               // 0000000062E0: 0AD8096C
	v_mul_f32_e32 v109, v109, v5                               // 0000000062E4: 0ADA0B6D
	v_mul_f32_e32 v110, v110, v6                               // 0000000062E8: 0ADC0D6E
	v_mul_f32_e32 v111, v111, v7                               // 0000000062EC: 0ADE0F6F
	v_mul_f32_e32 v108, v108, v164                             // 0000000062F0: 0AD9496C
	v_mul_f32_e32 v109, v109, v165                             // 0000000062F4: 0ADB4B6D
	v_mul_f32_e32 v110, v110, v166                             // 0000000062F8: 0ADD4D6E
	v_mul_f32_e32 v111, v111, v167                             // 0000000062FC: 0ADF4F6F
	v_pk_mul_f32 v[4:5], v[112:113], v[112:113]                // 000000006300: D3B14004 1802E170
	v_pk_mul_f32 v[6:7], v[114:115], v[114:115]                // 000000006308: D3B14006 1802E572
	v_pk_fma_f32 v[4:5], v[4:5], s[78:79], v[8:9]              // 000000006310: D3B04004 1C209D04
	v_pk_fma_f32 v[6:7], v[6:7], s[78:79], v[8:9]              // 000000006318: D3B04006 1C209D06
	v_pk_mul_f32 v[4:5], v[4:5], v[112:113]                    // 000000006320: D3B14004 1802E104
	v_pk_mul_f32 v[6:7], v[6:7], v[114:115]                    // 000000006328: D3B14006 1802E506
	v_pk_mul_f32 v[4:5], v[4:5], s[60:61]                      // 000000006330: D3B14004 18007904
	v_pk_mul_f32 v[6:7], v[6:7], s[60:61]                      // 000000006338: D3B14006 18007906
	v_exp_f32_e32 v4, v4                                       // 000000006340: 7E084104
	v_exp_f32_e32 v5, v5                                       // 000000006344: 7E0A4105
	v_exp_f32_e32 v6, v6                                       // 000000006348: 7E0C4106
	v_exp_f32_e32 v7, v7                                       // 00000000634C: 7E0E4107
	v_add_f32_e64 v4, v4, 1.0                                  // 000000006350: D1010004 0001E504
	v_add_f32_e64 v5, v5, 1.0                                  // 000000006358: D1010005 0001E505
	v_add_f32_e64 v6, v6, 1.0                                  // 000000006360: D1010006 0001E506
	v_add_f32_e64 v7, v7, 1.0                                  // 000000006368: D1010007 0001E507
	v_rcp_f32_e32 v4, v4                                       // 000000006370: 7E084504
	v_rcp_f32_e32 v5, v5                                       // 000000006374: 7E0A4505
	v_rcp_f32_e32 v6, v6                                       // 000000006378: 7E0C4506
	v_rcp_f32_e32 v7, v7                                       // 00000000637C: 7E0E4507
	v_mul_f32_e32 v112, v112, v4                               // 000000006380: 0AE00970
	v_mul_f32_e32 v113, v113, v5                               // 000000006384: 0AE20B71
	v_mul_f32_e32 v114, v114, v6                               // 000000006388: 0AE40D72
	v_mul_f32_e32 v115, v115, v7                               // 00000000638C: 0AE60F73
	v_mul_f32_e32 v112, v112, v168                             // 000000006390: 0AE15170
	v_mul_f32_e32 v113, v113, v169                             // 000000006394: 0AE35371
	v_mul_f32_e32 v114, v114, v170                             // 000000006398: 0AE55572
	v_mul_f32_e32 v115, v115, v171                             // 00000000639C: 0AE75773
	v_pk_mul_f32 v[4:5], v[116:117], v[116:117]                // 0000000063A0: D3B14004 1802E974
	v_pk_mul_f32 v[6:7], v[118:119], v[118:119]                // 0000000063A8: D3B14006 1802ED76
	v_pk_fma_f32 v[4:5], v[4:5], s[78:79], v[8:9]              // 0000000063B0: D3B04004 1C209D04
	v_pk_fma_f32 v[6:7], v[6:7], s[78:79], v[8:9]              // 0000000063B8: D3B04006 1C209D06
	v_pk_mul_f32 v[4:5], v[4:5], v[116:117]                    // 0000000063C0: D3B14004 1802E904
	v_pk_mul_f32 v[6:7], v[6:7], v[118:119]                    // 0000000063C8: D3B14006 1802ED06
	v_pk_mul_f32 v[4:5], v[4:5], s[60:61]                      // 0000000063D0: D3B14004 18007904
	v_pk_mul_f32 v[6:7], v[6:7], s[60:61]                      // 0000000063D8: D3B14006 18007906
	v_exp_f32_e32 v4, v4                                       // 0000000063E0: 7E084104
	v_exp_f32_e32 v5, v5                                       // 0000000063E4: 7E0A4105
	v_exp_f32_e32 v6, v6                                       // 0000000063E8: 7E0C4106
	v_exp_f32_e32 v7, v7                                       // 0000000063EC: 7E0E4107
	v_add_f32_e64 v4, v4, 1.0                                  // 0000000063F0: D1010004 0001E504
	v_add_f32_e64 v5, v5, 1.0                                  // 0000000063F8: D1010005 0001E505
	v_add_f32_e64 v6, v6, 1.0                                  // 000000006400: D1010006 0001E506
	v_add_f32_e64 v7, v7, 1.0                                  // 000000006408: D1010007 0001E507
	v_rcp_f32_e32 v4, v4                                       // 000000006410: 7E084504
	v_rcp_f32_e32 v5, v5                                       // 000000006414: 7E0A4505
	v_rcp_f32_e32 v6, v6                                       // 000000006418: 7E0C4506
	v_rcp_f32_e32 v7, v7                                       // 00000000641C: 7E0E4507
	v_mul_f32_e32 v116, v116, v4                               // 000000006420: 0AE80974
	v_mul_f32_e32 v117, v117, v5                               // 000000006424: 0AEA0B75
	v_mul_f32_e32 v118, v118, v6                               // 000000006428: 0AEC0D76
	v_mul_f32_e32 v119, v119, v7                               // 00000000642C: 0AEE0F77
	v_mul_f32_e32 v116, v116, v172                             // 000000006430: 0AE95974
	v_mul_f32_e32 v117, v117, v173                             // 000000006434: 0AEB5B75
	v_mul_f32_e32 v118, v118, v174                             // 000000006438: 0AED5D76
	v_mul_f32_e32 v119, v119, v175                             // 00000000643C: 0AEF5F77
	v_pk_mul_f32 v[4:5], v[120:121], v[120:121]                // 000000006440: D3B14004 1802F178
	v_pk_mul_f32 v[6:7], v[122:123], v[122:123]                // 000000006448: D3B14006 1802F57A
	v_pk_fma_f32 v[4:5], v[4:5], s[78:79], v[8:9]              // 000000006450: D3B04004 1C209D04
	v_pk_fma_f32 v[6:7], v[6:7], s[78:79], v[8:9]              // 000000006458: D3B04006 1C209D06
	v_pk_mul_f32 v[4:5], v[4:5], v[120:121]                    // 000000006460: D3B14004 1802F104
	v_pk_mul_f32 v[6:7], v[6:7], v[122:123]                    // 000000006468: D3B14006 1802F506
	v_pk_mul_f32 v[4:5], v[4:5], s[60:61]                      // 000000006470: D3B14004 18007904
	v_pk_mul_f32 v[6:7], v[6:7], s[60:61]                      // 000000006478: D3B14006 18007906
	v_exp_f32_e32 v4, v4                                       // 000000006480: 7E084104
	v_exp_f32_e32 v5, v5                                       // 000000006484: 7E0A4105
	v_exp_f32_e32 v6, v6                                       // 000000006488: 7E0C4106
	v_exp_f32_e32 v7, v7                                       // 00000000648C: 7E0E4107
	v_add_f32_e64 v4, v4, 1.0                                  // 000000006490: D1010004 0001E504
	v_add_f32_e64 v5, v5, 1.0                                  // 000000006498: D1010005 0001E505
	v_add_f32_e64 v6, v6, 1.0                                  // 0000000064A0: D1010006 0001E506
	v_add_f32_e64 v7, v7, 1.0                                  // 0000000064A8: D1010007 0001E507
	v_rcp_f32_e32 v4, v4                                       // 0000000064B0: 7E084504
	v_rcp_f32_e32 v5, v5                                       // 0000000064B4: 7E0A4505
	v_rcp_f32_e32 v6, v6                                       // 0000000064B8: 7E0C4506
	v_rcp_f32_e32 v7, v7                                       // 0000000064BC: 7E0E4507
	v_mul_f32_e32 v120, v120, v4                               // 0000000064C0: 0AF00978
	v_mul_f32_e32 v121, v121, v5                               // 0000000064C4: 0AF20B79
	v_mul_f32_e32 v122, v122, v6                               // 0000000064C8: 0AF40D7A
	v_mul_f32_e32 v123, v123, v7                               // 0000000064CC: 0AF60F7B
	v_mul_f32_e32 v120, v120, v176                             // 0000000064D0: 0AF16178
	v_mul_f32_e32 v121, v121, v177                             // 0000000064D4: 0AF36379
	v_mul_f32_e32 v122, v122, v178                             // 0000000064D8: 0AF5657A
	v_mul_f32_e32 v123, v123, v179                             // 0000000064DC: 0AF7677B
	v_pk_mul_f32 v[4:5], v[124:125], v[124:125]                // 0000000064E0: D3B14004 1802F97C
	v_pk_mul_f32 v[6:7], v[126:127], v[126:127]                // 0000000064E8: D3B14006 1802FD7E
	v_pk_fma_f32 v[4:5], v[4:5], s[78:79], v[8:9]              // 0000000064F0: D3B04004 1C209D04
	v_pk_fma_f32 v[6:7], v[6:7], s[78:79], v[8:9]              // 0000000064F8: D3B04006 1C209D06
	v_pk_mul_f32 v[4:5], v[4:5], v[124:125]                    // 000000006500: D3B14004 1802F904
	v_pk_mul_f32 v[6:7], v[6:7], v[126:127]                    // 000000006508: D3B14006 1802FD06
	v_pk_mul_f32 v[4:5], v[4:5], s[60:61]                      // 000000006510: D3B14004 18007904
	v_pk_mul_f32 v[6:7], v[6:7], s[60:61]                      // 000000006518: D3B14006 18007906
	v_exp_f32_e32 v4, v4                                       // 000000006520: 7E084104
	v_exp_f32_e32 v5, v5                                       // 000000006524: 7E0A4105
	v_exp_f32_e32 v6, v6                                       // 000000006528: 7E0C4106
	v_exp_f32_e32 v7, v7                                       // 00000000652C: 7E0E4107
	v_add_f32_e64 v4, v4, 1.0                                  // 000000006530: D1010004 0001E504
	v_add_f32_e64 v5, v5, 1.0                                  // 000000006538: D1010005 0001E505
	v_add_f32_e64 v6, v6, 1.0                                  // 000000006540: D1010006 0001E506
	v_add_f32_e64 v7, v7, 1.0                                  // 000000006548: D1010007 0001E507
	v_rcp_f32_e32 v4, v4                                       // 000000006550: 7E084504
	v_rcp_f32_e32 v5, v5                                       // 000000006554: 7E0A4505
	v_rcp_f32_e32 v6, v6                                       // 000000006558: 7E0C4506
	v_rcp_f32_e32 v7, v7                                       // 00000000655C: 7E0E4507
	v_mul_f32_e32 v124, v124, v4                               // 000000006560: 0AF8097C
	v_mul_f32_e32 v125, v125, v5                               // 000000006564: 0AFA0B7D
	v_mul_f32_e32 v126, v126, v6                               // 000000006568: 0AFC0D7E
	v_mul_f32_e32 v127, v127, v7                               // 00000000656C: 0AFE0F7F
	v_mul_f32_e32 v124, v124, v180                             // 000000006570: 0AF9697C
	v_mul_f32_e32 v125, v125, v181                             // 000000006574: 0AFB6B7D
	v_mul_f32_e32 v126, v126, v182                             // 000000006578: 0AFD6D7E
	v_mul_f32_e32 v127, v127, v183                             // 00000000657C: 0AFF6F7F
	v_pk_mul_f32 v[4:5], v[128:129], v[128:129]                // 000000006580: D3B14004 18030180
	v_pk_mul_f32 v[6:7], v[130:131], v[130:131]                // 000000006588: D3B14006 18030582
	v_pk_fma_f32 v[4:5], v[4:5], s[78:79], v[8:9]              // 000000006590: D3B04004 1C209D04
	v_pk_fma_f32 v[6:7], v[6:7], s[78:79], v[8:9]              // 000000006598: D3B04006 1C209D06
	v_pk_mul_f32 v[4:5], v[4:5], v[128:129]                    // 0000000065A0: D3B14004 18030104
	v_pk_mul_f32 v[6:7], v[6:7], v[130:131]                    // 0000000065A8: D3B14006 18030506
	v_pk_mul_f32 v[4:5], v[4:5], s[60:61]                      // 0000000065B0: D3B14004 18007904
	v_pk_mul_f32 v[6:7], v[6:7], s[60:61]                      // 0000000065B8: D3B14006 18007906
	v_exp_f32_e32 v4, v4                                       // 0000000065C0: 7E084104
	v_exp_f32_e32 v5, v5                                       // 0000000065C4: 7E0A4105
	v_exp_f32_e32 v6, v6                                       // 0000000065C8: 7E0C4106
	v_exp_f32_e32 v7, v7                                       // 0000000065CC: 7E0E4107
	v_add_f32_e64 v4, v4, 1.0                                  // 0000000065D0: D1010004 0001E504
	v_add_f32_e64 v5, v5, 1.0                                  // 0000000065D8: D1010005 0001E505
	v_add_f32_e64 v6, v6, 1.0                                  // 0000000065E0: D1010006 0001E506
	v_add_f32_e64 v7, v7, 1.0                                  // 0000000065E8: D1010007 0001E507
	v_rcp_f32_e32 v4, v4                                       // 0000000065F0: 7E084504
	v_rcp_f32_e32 v5, v5                                       // 0000000065F4: 7E0A4505
	v_rcp_f32_e32 v6, v6                                       // 0000000065F8: 7E0C4506
	v_rcp_f32_e32 v7, v7                                       // 0000000065FC: 7E0E4507
	v_mul_f32_e32 v128, v128, v4                               // 000000006600: 0B000980
	v_mul_f32_e32 v129, v129, v5                               // 000000006604: 0B020B81
	v_mul_f32_e32 v130, v130, v6                               // 000000006608: 0B040D82
	v_mul_f32_e32 v131, v131, v7                               // 00000000660C: 0B060F83
	v_mul_f32_e32 v128, v128, v184                             // 000000006610: 0B017180
	v_mul_f32_e32 v129, v129, v185                             // 000000006614: 0B037381
	v_mul_f32_e32 v130, v130, v186                             // 000000006618: 0B057582
	v_mul_f32_e32 v131, v131, v187                             // 00000000661C: 0B077783
	s_branch label_10C9                                        // 000000006620: BF8201C0

0000000000006624 <label_0F09>:
	v_mul_f32_e64 v4, -v76, s6                                 // 000000006624: D1050004 20000D4C
	v_mul_f32_e64 v5, -v77, s6                                 // 00000000662C: D1050005 20000D4D
	v_mul_f32_e64 v6, -v78, s6                                 // 000000006634: D1050006 20000D4E
	v_mul_f32_e64 v7, -v79, s6                                 // 00000000663C: D1050007 20000D4F
	v_exp_f32_e32 v4, v4                                       // 000000006644: 7E084104
	v_exp_f32_e32 v5, v5                                       // 000000006648: 7E0A4105
	v_exp_f32_e32 v6, v6                                       // 00000000664C: 7E0C4106
	v_exp_f32_e32 v7, v7                                       // 000000006650: 7E0E4107
	v_add_f32_e64 v4, v4, 1.0                                  // 000000006654: D1010004 0001E504
	v_add_f32_e64 v5, v5, 1.0                                  // 00000000665C: D1010005 0001E505
	v_add_f32_e64 v6, v6, 1.0                                  // 000000006664: D1010006 0001E506
	v_add_f32_e64 v7, v7, 1.0                                  // 00000000666C: D1010007 0001E507
	v_rcp_f32_e32 v4, v4                                       // 000000006674: 7E084504
	v_rcp_f32_e32 v5, v5                                       // 000000006678: 7E0A4505
	v_rcp_f32_e32 v6, v6                                       // 00000000667C: 7E0C4506
	v_rcp_f32_e32 v7, v7                                       // 000000006680: 7E0E4507
	v_mul_f32_e32 v76, v76, v4                                 // 000000006684: 0A98094C
	v_mul_f32_e32 v77, v77, v5                                 // 000000006688: 0A9A0B4D
	v_mul_f32_e32 v78, v78, v6                                 // 00000000668C: 0A9C0D4E
	v_mul_f32_e32 v79, v79, v7                                 // 000000006690: 0A9E0F4F
	v_mul_f32_e32 v76, v76, v132                               // 000000006694: 0A99094C
	v_mul_f32_e32 v77, v77, v133                               // 000000006698: 0A9B0B4D
	v_mul_f32_e32 v78, v78, v134                               // 00000000669C: 0A9D0D4E
	v_mul_f32_e32 v79, v79, v135                               // 0000000066A0: 0A9F0F4F
	v_mul_f32_e64 v4, -v80, s6                                 // 0000000066A4: D1050004 20000D50
	v_mul_f32_e64 v5, -v81, s6                                 // 0000000066AC: D1050005 20000D51
	v_mul_f32_e64 v6, -v82, s6                                 // 0000000066B4: D1050006 20000D52
	v_mul_f32_e64 v7, -v83, s6                                 // 0000000066BC: D1050007 20000D53
	v_exp_f32_e32 v4, v4                                       // 0000000066C4: 7E084104
	v_exp_f32_e32 v5, v5                                       // 0000000066C8: 7E0A4105
	v_exp_f32_e32 v6, v6                                       // 0000000066CC: 7E0C4106
	v_exp_f32_e32 v7, v7                                       // 0000000066D0: 7E0E4107
	v_add_f32_e64 v4, v4, 1.0                                  // 0000000066D4: D1010004 0001E504
	v_add_f32_e64 v5, v5, 1.0                                  // 0000000066DC: D1010005 0001E505
	v_add_f32_e64 v6, v6, 1.0                                  // 0000000066E4: D1010006 0001E506
	v_add_f32_e64 v7, v7, 1.0                                  // 0000000066EC: D1010007 0001E507
	v_rcp_f32_e32 v4, v4                                       // 0000000066F4: 7E084504
	v_rcp_f32_e32 v5, v5                                       // 0000000066F8: 7E0A4505
	v_rcp_f32_e32 v6, v6                                       // 0000000066FC: 7E0C4506
	v_rcp_f32_e32 v7, v7                                       // 000000006700: 7E0E4507
	v_mul_f32_e32 v80, v80, v4                                 // 000000006704: 0AA00950
	v_mul_f32_e32 v81, v81, v5                                 // 000000006708: 0AA20B51
	v_mul_f32_e32 v82, v82, v6                                 // 00000000670C: 0AA40D52
	v_mul_f32_e32 v83, v83, v7                                 // 000000006710: 0AA60F53
	v_mul_f32_e32 v80, v80, v136                               // 000000006714: 0AA11150
	v_mul_f32_e32 v81, v81, v137                               // 000000006718: 0AA31351
	v_mul_f32_e32 v82, v82, v138                               // 00000000671C: 0AA51552
	v_mul_f32_e32 v83, v83, v139                               // 000000006720: 0AA71753
	v_mul_f32_e64 v4, -v84, s6                                 // 000000006724: D1050004 20000D54
	v_mul_f32_e64 v5, -v85, s6                                 // 00000000672C: D1050005 20000D55
	v_mul_f32_e64 v6, -v86, s6                                 // 000000006734: D1050006 20000D56
	v_mul_f32_e64 v7, -v87, s6                                 // 00000000673C: D1050007 20000D57
	v_exp_f32_e32 v4, v4                                       // 000000006744: 7E084104
	v_exp_f32_e32 v5, v5                                       // 000000006748: 7E0A4105
	v_exp_f32_e32 v6, v6                                       // 00000000674C: 7E0C4106
	v_exp_f32_e32 v7, v7                                       // 000000006750: 7E0E4107
	v_add_f32_e64 v4, v4, 1.0                                  // 000000006754: D1010004 0001E504
	v_add_f32_e64 v5, v5, 1.0                                  // 00000000675C: D1010005 0001E505
	v_add_f32_e64 v6, v6, 1.0                                  // 000000006764: D1010006 0001E506
	v_add_f32_e64 v7, v7, 1.0                                  // 00000000676C: D1010007 0001E507
	v_rcp_f32_e32 v4, v4                                       // 000000006774: 7E084504
	v_rcp_f32_e32 v5, v5                                       // 000000006778: 7E0A4505
	v_rcp_f32_e32 v6, v6                                       // 00000000677C: 7E0C4506
	v_rcp_f32_e32 v7, v7                                       // 000000006780: 7E0E4507
	v_mul_f32_e32 v84, v84, v4                                 // 000000006784: 0AA80954
	v_mul_f32_e32 v85, v85, v5                                 // 000000006788: 0AAA0B55
	v_mul_f32_e32 v86, v86, v6                                 // 00000000678C: 0AAC0D56
	v_mul_f32_e32 v87, v87, v7                                 // 000000006790: 0AAE0F57
	v_mul_f32_e32 v84, v84, v140                               // 000000006794: 0AA91954
	v_mul_f32_e32 v85, v85, v141                               // 000000006798: 0AAB1B55
	v_mul_f32_e32 v86, v86, v142                               // 00000000679C: 0AAD1D56
	v_mul_f32_e32 v87, v87, v143                               // 0000000067A0: 0AAF1F57
	v_mul_f32_e64 v4, -v88, s6                                 // 0000000067A4: D1050004 20000D58
	v_mul_f32_e64 v5, -v89, s6                                 // 0000000067AC: D1050005 20000D59
	v_mul_f32_e64 v6, -v90, s6                                 // 0000000067B4: D1050006 20000D5A
	v_mul_f32_e64 v7, -v91, s6                                 // 0000000067BC: D1050007 20000D5B
	v_exp_f32_e32 v4, v4                                       // 0000000067C4: 7E084104
	v_exp_f32_e32 v5, v5                                       // 0000000067C8: 7E0A4105
	v_exp_f32_e32 v6, v6                                       // 0000000067CC: 7E0C4106
	v_exp_f32_e32 v7, v7                                       // 0000000067D0: 7E0E4107
	v_add_f32_e64 v4, v4, 1.0                                  // 0000000067D4: D1010004 0001E504
	v_add_f32_e64 v5, v5, 1.0                                  // 0000000067DC: D1010005 0001E505
	v_add_f32_e64 v6, v6, 1.0                                  // 0000000067E4: D1010006 0001E506
	v_add_f32_e64 v7, v7, 1.0                                  // 0000000067EC: D1010007 0001E507
	v_rcp_f32_e32 v4, v4                                       // 0000000067F4: 7E084504
	v_rcp_f32_e32 v5, v5                                       // 0000000067F8: 7E0A4505
	v_rcp_f32_e32 v6, v6                                       // 0000000067FC: 7E0C4506
	v_rcp_f32_e32 v7, v7                                       // 000000006800: 7E0E4507
	v_mul_f32_e32 v88, v88, v4                                 // 000000006804: 0AB00958
	v_mul_f32_e32 v89, v89, v5                                 // 000000006808: 0AB20B59
	v_mul_f32_e32 v90, v90, v6                                 // 00000000680C: 0AB40D5A
	v_mul_f32_e32 v91, v91, v7                                 // 000000006810: 0AB60F5B
	v_mul_f32_e32 v88, v88, v144                               // 000000006814: 0AB12158
	v_mul_f32_e32 v89, v89, v145                               // 000000006818: 0AB32359
	v_mul_f32_e32 v90, v90, v146                               // 00000000681C: 0AB5255A
	v_mul_f32_e32 v91, v91, v147                               // 000000006820: 0AB7275B
	v_mul_f32_e64 v4, -v92, s6                                 // 000000006824: D1050004 20000D5C
	v_mul_f32_e64 v5, -v93, s6                                 // 00000000682C: D1050005 20000D5D
	v_mul_f32_e64 v6, -v94, s6                                 // 000000006834: D1050006 20000D5E
	v_mul_f32_e64 v7, -v95, s6                                 // 00000000683C: D1050007 20000D5F
	v_exp_f32_e32 v4, v4                                       // 000000006844: 7E084104
	v_exp_f32_e32 v5, v5                                       // 000000006848: 7E0A4105
	v_exp_f32_e32 v6, v6                                       // 00000000684C: 7E0C4106
	v_exp_f32_e32 v7, v7                                       // 000000006850: 7E0E4107
	v_add_f32_e64 v4, v4, 1.0                                  // 000000006854: D1010004 0001E504
	v_add_f32_e64 v5, v5, 1.0                                  // 00000000685C: D1010005 0001E505
	v_add_f32_e64 v6, v6, 1.0                                  // 000000006864: D1010006 0001E506
	v_add_f32_e64 v7, v7, 1.0                                  // 00000000686C: D1010007 0001E507
	v_rcp_f32_e32 v4, v4                                       // 000000006874: 7E084504
	v_rcp_f32_e32 v5, v5                                       // 000000006878: 7E0A4505
	v_rcp_f32_e32 v6, v6                                       // 00000000687C: 7E0C4506
	v_rcp_f32_e32 v7, v7                                       // 000000006880: 7E0E4507
	v_mul_f32_e32 v92, v92, v4                                 // 000000006884: 0AB8095C
	v_mul_f32_e32 v93, v93, v5                                 // 000000006888: 0ABA0B5D
	v_mul_f32_e32 v94, v94, v6                                 // 00000000688C: 0ABC0D5E
	v_mul_f32_e32 v95, v95, v7                                 // 000000006890: 0ABE0F5F
	v_mul_f32_e32 v92, v92, v148                               // 000000006894: 0AB9295C
	v_mul_f32_e32 v93, v93, v149                               // 000000006898: 0ABB2B5D
	v_mul_f32_e32 v94, v94, v150                               // 00000000689C: 0ABD2D5E
	v_mul_f32_e32 v95, v95, v151                               // 0000000068A0: 0ABF2F5F
	v_mul_f32_e64 v4, -v96, s6                                 // 0000000068A4: D1050004 20000D60
	v_mul_f32_e64 v5, -v97, s6                                 // 0000000068AC: D1050005 20000D61
	v_mul_f32_e64 v6, -v98, s6                                 // 0000000068B4: D1050006 20000D62
	v_mul_f32_e64 v7, -v99, s6                                 // 0000000068BC: D1050007 20000D63
	v_exp_f32_e32 v4, v4                                       // 0000000068C4: 7E084104
	v_exp_f32_e32 v5, v5                                       // 0000000068C8: 7E0A4105
	v_exp_f32_e32 v6, v6                                       // 0000000068CC: 7E0C4106
	v_exp_f32_e32 v7, v7                                       // 0000000068D0: 7E0E4107
	v_add_f32_e64 v4, v4, 1.0                                  // 0000000068D4: D1010004 0001E504
	v_add_f32_e64 v5, v5, 1.0                                  // 0000000068DC: D1010005 0001E505
	v_add_f32_e64 v6, v6, 1.0                                  // 0000000068E4: D1010006 0001E506
	v_add_f32_e64 v7, v7, 1.0                                  // 0000000068EC: D1010007 0001E507
	v_rcp_f32_e32 v4, v4                                       // 0000000068F4: 7E084504
	v_rcp_f32_e32 v5, v5                                       // 0000000068F8: 7E0A4505
	v_rcp_f32_e32 v6, v6                                       // 0000000068FC: 7E0C4506
	v_rcp_f32_e32 v7, v7                                       // 000000006900: 7E0E4507
	v_mul_f32_e32 v96, v96, v4                                 // 000000006904: 0AC00960
	v_mul_f32_e32 v97, v97, v5                                 // 000000006908: 0AC20B61
	v_mul_f32_e32 v98, v98, v6                                 // 00000000690C: 0AC40D62
	v_mul_f32_e32 v99, v99, v7                                 // 000000006910: 0AC60F63
	v_mul_f32_e32 v96, v96, v152                               // 000000006914: 0AC13160
	v_mul_f32_e32 v97, v97, v153                               // 000000006918: 0AC33361
	v_mul_f32_e32 v98, v98, v154                               // 00000000691C: 0AC53562
	v_mul_f32_e32 v99, v99, v155                               // 000000006920: 0AC73763
	v_mul_f32_e64 v4, -v100, s6                                // 000000006924: D1050004 20000D64
	v_mul_f32_e64 v5, -v101, s6                                // 00000000692C: D1050005 20000D65
	v_mul_f32_e64 v6, -v102, s6                                // 000000006934: D1050006 20000D66
	v_mul_f32_e64 v7, -v103, s6                                // 00000000693C: D1050007 20000D67
	v_exp_f32_e32 v4, v4                                       // 000000006944: 7E084104
	v_exp_f32_e32 v5, v5                                       // 000000006948: 7E0A4105
	v_exp_f32_e32 v6, v6                                       // 00000000694C: 7E0C4106
	v_exp_f32_e32 v7, v7                                       // 000000006950: 7E0E4107
	v_add_f32_e64 v4, v4, 1.0                                  // 000000006954: D1010004 0001E504
	v_add_f32_e64 v5, v5, 1.0                                  // 00000000695C: D1010005 0001E505
	v_add_f32_e64 v6, v6, 1.0                                  // 000000006964: D1010006 0001E506
	v_add_f32_e64 v7, v7, 1.0                                  // 00000000696C: D1010007 0001E507
	v_rcp_f32_e32 v4, v4                                       // 000000006974: 7E084504
	v_rcp_f32_e32 v5, v5                                       // 000000006978: 7E0A4505
	v_rcp_f32_e32 v6, v6                                       // 00000000697C: 7E0C4506
	v_rcp_f32_e32 v7, v7                                       // 000000006980: 7E0E4507
	v_mul_f32_e32 v100, v100, v4                               // 000000006984: 0AC80964
	v_mul_f32_e32 v101, v101, v5                               // 000000006988: 0ACA0B65
	v_mul_f32_e32 v102, v102, v6                               // 00000000698C: 0ACC0D66
	v_mul_f32_e32 v103, v103, v7                               // 000000006990: 0ACE0F67
	v_mul_f32_e32 v100, v100, v156                             // 000000006994: 0AC93964
	v_mul_f32_e32 v101, v101, v157                             // 000000006998: 0ACB3B65
	v_mul_f32_e32 v102, v102, v158                             // 00000000699C: 0ACD3D66
	v_mul_f32_e32 v103, v103, v159                             // 0000000069A0: 0ACF3F67
	v_mul_f32_e64 v4, -v104, s6                                // 0000000069A4: D1050004 20000D68
	v_mul_f32_e64 v5, -v105, s6                                // 0000000069AC: D1050005 20000D69
	v_mul_f32_e64 v6, -v106, s6                                // 0000000069B4: D1050006 20000D6A
	v_mul_f32_e64 v7, -v107, s6                                // 0000000069BC: D1050007 20000D6B
	v_exp_f32_e32 v4, v4                                       // 0000000069C4: 7E084104
	v_exp_f32_e32 v5, v5                                       // 0000000069C8: 7E0A4105
	v_exp_f32_e32 v6, v6                                       // 0000000069CC: 7E0C4106
	v_exp_f32_e32 v7, v7                                       // 0000000069D0: 7E0E4107
	v_add_f32_e64 v4, v4, 1.0                                  // 0000000069D4: D1010004 0001E504
	v_add_f32_e64 v5, v5, 1.0                                  // 0000000069DC: D1010005 0001E505
	v_add_f32_e64 v6, v6, 1.0                                  // 0000000069E4: D1010006 0001E506
	v_add_f32_e64 v7, v7, 1.0                                  // 0000000069EC: D1010007 0001E507
	v_rcp_f32_e32 v4, v4                                       // 0000000069F4: 7E084504
	v_rcp_f32_e32 v5, v5                                       // 0000000069F8: 7E0A4505
	v_rcp_f32_e32 v6, v6                                       // 0000000069FC: 7E0C4506
	v_rcp_f32_e32 v7, v7                                       // 000000006A00: 7E0E4507
	v_mul_f32_e32 v104, v104, v4                               // 000000006A04: 0AD00968
	v_mul_f32_e32 v105, v105, v5                               // 000000006A08: 0AD20B69
	v_mul_f32_e32 v106, v106, v6                               // 000000006A0C: 0AD40D6A
	v_mul_f32_e32 v107, v107, v7                               // 000000006A10: 0AD60F6B
	v_mul_f32_e32 v104, v104, v160                             // 000000006A14: 0AD14168
	v_mul_f32_e32 v105, v105, v161                             // 000000006A18: 0AD34369
	v_mul_f32_e32 v106, v106, v162                             // 000000006A1C: 0AD5456A
	v_mul_f32_e32 v107, v107, v163                             // 000000006A20: 0AD7476B
	v_mul_f32_e64 v4, -v108, s6                                // 000000006A24: D1050004 20000D6C
	v_mul_f32_e64 v5, -v109, s6                                // 000000006A2C: D1050005 20000D6D
	v_mul_f32_e64 v6, -v110, s6                                // 000000006A34: D1050006 20000D6E
	v_mul_f32_e64 v7, -v111, s6                                // 000000006A3C: D1050007 20000D6F
	v_exp_f32_e32 v4, v4                                       // 000000006A44: 7E084104
	v_exp_f32_e32 v5, v5                                       // 000000006A48: 7E0A4105
	v_exp_f32_e32 v6, v6                                       // 000000006A4C: 7E0C4106
	v_exp_f32_e32 v7, v7                                       // 000000006A50: 7E0E4107
	v_add_f32_e64 v4, v4, 1.0                                  // 000000006A54: D1010004 0001E504
	v_add_f32_e64 v5, v5, 1.0                                  // 000000006A5C: D1010005 0001E505
	v_add_f32_e64 v6, v6, 1.0                                  // 000000006A64: D1010006 0001E506
	v_add_f32_e64 v7, v7, 1.0                                  // 000000006A6C: D1010007 0001E507
	v_rcp_f32_e32 v4, v4                                       // 000000006A74: 7E084504
	v_rcp_f32_e32 v5, v5                                       // 000000006A78: 7E0A4505
	v_rcp_f32_e32 v6, v6                                       // 000000006A7C: 7E0C4506
	v_rcp_f32_e32 v7, v7                                       // 000000006A80: 7E0E4507
	v_mul_f32_e32 v108, v108, v4                               // 000000006A84: 0AD8096C
	v_mul_f32_e32 v109, v109, v5                               // 000000006A88: 0ADA0B6D
	v_mul_f32_e32 v110, v110, v6                               // 000000006A8C: 0ADC0D6E
	v_mul_f32_e32 v111, v111, v7                               // 000000006A90: 0ADE0F6F
	v_mul_f32_e32 v108, v108, v164                             // 000000006A94: 0AD9496C
	v_mul_f32_e32 v109, v109, v165                             // 000000006A98: 0ADB4B6D
	v_mul_f32_e32 v110, v110, v166                             // 000000006A9C: 0ADD4D6E
	v_mul_f32_e32 v111, v111, v167                             // 000000006AA0: 0ADF4F6F
	v_mul_f32_e64 v4, -v112, s6                                // 000000006AA4: D1050004 20000D70
	v_mul_f32_e64 v5, -v113, s6                                // 000000006AAC: D1050005 20000D71
	v_mul_f32_e64 v6, -v114, s6                                // 000000006AB4: D1050006 20000D72
	v_mul_f32_e64 v7, -v115, s6                                // 000000006ABC: D1050007 20000D73
	v_exp_f32_e32 v4, v4                                       // 000000006AC4: 7E084104
	v_exp_f32_e32 v5, v5                                       // 000000006AC8: 7E0A4105
	v_exp_f32_e32 v6, v6                                       // 000000006ACC: 7E0C4106
	v_exp_f32_e32 v7, v7                                       // 000000006AD0: 7E0E4107
	v_add_f32_e64 v4, v4, 1.0                                  // 000000006AD4: D1010004 0001E504
	v_add_f32_e64 v5, v5, 1.0                                  // 000000006ADC: D1010005 0001E505
	v_add_f32_e64 v6, v6, 1.0                                  // 000000006AE4: D1010006 0001E506
	v_add_f32_e64 v7, v7, 1.0                                  // 000000006AEC: D1010007 0001E507
	v_rcp_f32_e32 v4, v4                                       // 000000006AF4: 7E084504
	v_rcp_f32_e32 v5, v5                                       // 000000006AF8: 7E0A4505
	v_rcp_f32_e32 v6, v6                                       // 000000006AFC: 7E0C4506
	v_rcp_f32_e32 v7, v7                                       // 000000006B00: 7E0E4507
	v_mul_f32_e32 v112, v112, v4                               // 000000006B04: 0AE00970
	v_mul_f32_e32 v113, v113, v5                               // 000000006B08: 0AE20B71
	v_mul_f32_e32 v114, v114, v6                               // 000000006B0C: 0AE40D72
	v_mul_f32_e32 v115, v115, v7                               // 000000006B10: 0AE60F73
	v_mul_f32_e32 v112, v112, v168                             // 000000006B14: 0AE15170
	v_mul_f32_e32 v113, v113, v169                             // 000000006B18: 0AE35371
	v_mul_f32_e32 v114, v114, v170                             // 000000006B1C: 0AE55572
	v_mul_f32_e32 v115, v115, v171                             // 000000006B20: 0AE75773
	v_mul_f32_e64 v4, -v116, s6                                // 000000006B24: D1050004 20000D74
	v_mul_f32_e64 v5, -v117, s6                                // 000000006B2C: D1050005 20000D75
	v_mul_f32_e64 v6, -v118, s6                                // 000000006B34: D1050006 20000D76
	v_mul_f32_e64 v7, -v119, s6                                // 000000006B3C: D1050007 20000D77
	v_exp_f32_e32 v4, v4                                       // 000000006B44: 7E084104
	v_exp_f32_e32 v5, v5                                       // 000000006B48: 7E0A4105
	v_exp_f32_e32 v6, v6                                       // 000000006B4C: 7E0C4106
	v_exp_f32_e32 v7, v7                                       // 000000006B50: 7E0E4107
	v_add_f32_e64 v4, v4, 1.0                                  // 000000006B54: D1010004 0001E504
	v_add_f32_e64 v5, v5, 1.0                                  // 000000006B5C: D1010005 0001E505
	v_add_f32_e64 v6, v6, 1.0                                  // 000000006B64: D1010006 0001E506
	v_add_f32_e64 v7, v7, 1.0                                  // 000000006B6C: D1010007 0001E507
	v_rcp_f32_e32 v4, v4                                       // 000000006B74: 7E084504
	v_rcp_f32_e32 v5, v5                                       // 000000006B78: 7E0A4505
	v_rcp_f32_e32 v6, v6                                       // 000000006B7C: 7E0C4506
	v_rcp_f32_e32 v7, v7                                       // 000000006B80: 7E0E4507
	v_mul_f32_e32 v116, v116, v4                               // 000000006B84: 0AE80974
	v_mul_f32_e32 v117, v117, v5                               // 000000006B88: 0AEA0B75
	v_mul_f32_e32 v118, v118, v6                               // 000000006B8C: 0AEC0D76
	v_mul_f32_e32 v119, v119, v7                               // 000000006B90: 0AEE0F77
	v_mul_f32_e32 v116, v116, v172                             // 000000006B94: 0AE95974
	v_mul_f32_e32 v117, v117, v173                             // 000000006B98: 0AEB5B75
	v_mul_f32_e32 v118, v118, v174                             // 000000006B9C: 0AED5D76
	v_mul_f32_e32 v119, v119, v175                             // 000000006BA0: 0AEF5F77
	v_mul_f32_e64 v4, -v120, s6                                // 000000006BA4: D1050004 20000D78
	v_mul_f32_e64 v5, -v121, s6                                // 000000006BAC: D1050005 20000D79
	v_mul_f32_e64 v6, -v122, s6                                // 000000006BB4: D1050006 20000D7A
	v_mul_f32_e64 v7, -v123, s6                                // 000000006BBC: D1050007 20000D7B
	v_exp_f32_e32 v4, v4                                       // 000000006BC4: 7E084104
	v_exp_f32_e32 v5, v5                                       // 000000006BC8: 7E0A4105
	v_exp_f32_e32 v6, v6                                       // 000000006BCC: 7E0C4106
	v_exp_f32_e32 v7, v7                                       // 000000006BD0: 7E0E4107
	v_add_f32_e64 v4, v4, 1.0                                  // 000000006BD4: D1010004 0001E504
	v_add_f32_e64 v5, v5, 1.0                                  // 000000006BDC: D1010005 0001E505
	v_add_f32_e64 v6, v6, 1.0                                  // 000000006BE4: D1010006 0001E506
	v_add_f32_e64 v7, v7, 1.0                                  // 000000006BEC: D1010007 0001E507
	v_rcp_f32_e32 v4, v4                                       // 000000006BF4: 7E084504
	v_rcp_f32_e32 v5, v5                                       // 000000006BF8: 7E0A4505
	v_rcp_f32_e32 v6, v6                                       // 000000006BFC: 7E0C4506
	v_rcp_f32_e32 v7, v7                                       // 000000006C00: 7E0E4507
	v_mul_f32_e32 v120, v120, v4                               // 000000006C04: 0AF00978
	v_mul_f32_e32 v121, v121, v5                               // 000000006C08: 0AF20B79
	v_mul_f32_e32 v122, v122, v6                               // 000000006C0C: 0AF40D7A
	v_mul_f32_e32 v123, v123, v7                               // 000000006C10: 0AF60F7B
	v_mul_f32_e32 v120, v120, v176                             // 000000006C14: 0AF16178
	v_mul_f32_e32 v121, v121, v177                             // 000000006C18: 0AF36379
	v_mul_f32_e32 v122, v122, v178                             // 000000006C1C: 0AF5657A
	v_mul_f32_e32 v123, v123, v179                             // 000000006C20: 0AF7677B
	v_mul_f32_e64 v4, -v124, s6                                // 000000006C24: D1050004 20000D7C
	v_mul_f32_e64 v5, -v125, s6                                // 000000006C2C: D1050005 20000D7D
	v_mul_f32_e64 v6, -v126, s6                                // 000000006C34: D1050006 20000D7E
	v_mul_f32_e64 v7, -v127, s6                                // 000000006C3C: D1050007 20000D7F
	v_exp_f32_e32 v4, v4                                       // 000000006C44: 7E084104
	v_exp_f32_e32 v5, v5                                       // 000000006C48: 7E0A4105
	v_exp_f32_e32 v6, v6                                       // 000000006C4C: 7E0C4106
	v_exp_f32_e32 v7, v7                                       // 000000006C50: 7E0E4107
	v_add_f32_e64 v4, v4, 1.0                                  // 000000006C54: D1010004 0001E504
	v_add_f32_e64 v5, v5, 1.0                                  // 000000006C5C: D1010005 0001E505
	v_add_f32_e64 v6, v6, 1.0                                  // 000000006C64: D1010006 0001E506
	v_add_f32_e64 v7, v7, 1.0                                  // 000000006C6C: D1010007 0001E507
	v_rcp_f32_e32 v4, v4                                       // 000000006C74: 7E084504
	v_rcp_f32_e32 v5, v5                                       // 000000006C78: 7E0A4505
	v_rcp_f32_e32 v6, v6                                       // 000000006C7C: 7E0C4506
	v_rcp_f32_e32 v7, v7                                       // 000000006C80: 7E0E4507
	v_mul_f32_e32 v124, v124, v4                               // 000000006C84: 0AF8097C
	v_mul_f32_e32 v125, v125, v5                               // 000000006C88: 0AFA0B7D
	v_mul_f32_e32 v126, v126, v6                               // 000000006C8C: 0AFC0D7E
	v_mul_f32_e32 v127, v127, v7                               // 000000006C90: 0AFE0F7F
	v_mul_f32_e32 v124, v124, v180                             // 000000006C94: 0AF9697C
	v_mul_f32_e32 v125, v125, v181                             // 000000006C98: 0AFB6B7D
	v_mul_f32_e32 v126, v126, v182                             // 000000006C9C: 0AFD6D7E
	v_mul_f32_e32 v127, v127, v183                             // 000000006CA0: 0AFF6F7F
	v_mul_f32_e64 v4, -v128, s6                                // 000000006CA4: D1050004 20000D80
	v_mul_f32_e64 v5, -v129, s6                                // 000000006CAC: D1050005 20000D81
	v_mul_f32_e64 v6, -v130, s6                                // 000000006CB4: D1050006 20000D82
	v_mul_f32_e64 v7, -v131, s6                                // 000000006CBC: D1050007 20000D83
	v_exp_f32_e32 v4, v4                                       // 000000006CC4: 7E084104
	v_exp_f32_e32 v5, v5                                       // 000000006CC8: 7E0A4105
	v_exp_f32_e32 v6, v6                                       // 000000006CCC: 7E0C4106
	v_exp_f32_e32 v7, v7                                       // 000000006CD0: 7E0E4107
	v_add_f32_e64 v4, v4, 1.0                                  // 000000006CD4: D1010004 0001E504
	v_add_f32_e64 v5, v5, 1.0                                  // 000000006CDC: D1010005 0001E505
	v_add_f32_e64 v6, v6, 1.0                                  // 000000006CE4: D1010006 0001E506
	v_add_f32_e64 v7, v7, 1.0                                  // 000000006CEC: D1010007 0001E507
	v_rcp_f32_e32 v4, v4                                       // 000000006CF4: 7E084504
	v_rcp_f32_e32 v5, v5                                       // 000000006CF8: 7E0A4505
	v_rcp_f32_e32 v6, v6                                       // 000000006CFC: 7E0C4506
	v_rcp_f32_e32 v7, v7                                       // 000000006D00: 7E0E4507
	v_mul_f32_e32 v128, v128, v4                               // 000000006D04: 0B000980
	v_mul_f32_e32 v129, v129, v5                               // 000000006D08: 0B020B81
	v_mul_f32_e32 v130, v130, v6                               // 000000006D0C: 0B040D82
	v_mul_f32_e32 v131, v131, v7                               // 000000006D10: 0B060F83
	v_mul_f32_e32 v128, v128, v184                             // 000000006D14: 0B017180
	v_mul_f32_e32 v129, v129, v185                             // 000000006D18: 0B037381
	v_mul_f32_e32 v130, v130, v186                             // 000000006D1C: 0B057582
	v_mul_f32_e32 v131, v131, v187                             // 000000006D20: 0B077783

0000000000006d24 <label_10C9>:
	v_cmp_u_f32_e64 s[46:47], v76, v76                         // 000000006D24: D048002E 0002994C
	v_add3_u32 v16, v76, v19, 1                                // 000000006D2C: D1FF0010 0206274C
	v_cndmask_b32_e64 v4, v16, v18, s[46:47]                   // 000000006D34: D1000004 00BA2510
	v_cmp_u_f32_e64 s[46:47], v77, v77                         // 000000006D3C: D048002E 00029B4D
	v_add3_u32 v16, v77, v19, 1                                // 000000006D44: D1FF0010 0206274D
	v_cndmask_b32_e64 v5, v16, v18, s[46:47]                   // 000000006D4C: D1000005 00BA2510
	v_perm_b32 v76, v5, v4, s52                                // 000000006D54: D1ED004C 00D20905
	v_cmp_u_f32_e64 s[46:47], v78, v78                         // 000000006D5C: D048002E 00029D4E
	v_add3_u32 v16, v78, v19, 1                                // 000000006D64: D1FF0010 0206274E
	v_cndmask_b32_e64 v4, v16, v18, s[46:47]                   // 000000006D6C: D1000004 00BA2510
	v_cmp_u_f32_e64 s[46:47], v79, v79                         // 000000006D74: D048002E 00029F4F
	v_add3_u32 v16, v79, v19, 1                                // 000000006D7C: D1FF0010 0206274F
	v_cndmask_b32_e64 v5, v16, v18, s[46:47]                   // 000000006D84: D1000005 00BA2510
	v_perm_b32 v77, v5, v4, s52                                // 000000006D8C: D1ED004D 00D20905
	v_cmp_u_f32_e64 s[46:47], v80, v80                         // 000000006D94: D048002E 0002A150
	v_add3_u32 v16, v80, v19, 1                                // 000000006D9C: D1FF0010 02062750
	v_cndmask_b32_e64 v4, v16, v18, s[46:47]                   // 000000006DA4: D1000004 00BA2510
	v_cmp_u_f32_e64 s[46:47], v81, v81                         // 000000006DAC: D048002E 0002A351
	v_add3_u32 v16, v81, v19, 1                                // 000000006DB4: D1FF0010 02062751
	v_cndmask_b32_e64 v5, v16, v18, s[46:47]                   // 000000006DBC: D1000005 00BA2510
	v_perm_b32 v78, v5, v4, s52                                // 000000006DC4: D1ED004E 00D20905
	v_cmp_u_f32_e64 s[46:47], v82, v82                         // 000000006DCC: D048002E 0002A552
	v_add3_u32 v16, v82, v19, 1                                // 000000006DD4: D1FF0010 02062752
	v_cndmask_b32_e64 v4, v16, v18, s[46:47]                   // 000000006DDC: D1000004 00BA2510
	v_cmp_u_f32_e64 s[46:47], v83, v83                         // 000000006DE4: D048002E 0002A753
	v_add3_u32 v16, v83, v19, 1                                // 000000006DEC: D1FF0010 02062753
	v_cndmask_b32_e64 v5, v16, v18, s[46:47]                   // 000000006DF4: D1000005 00BA2510
	v_perm_b32 v79, v5, v4, s52                                // 000000006DFC: D1ED004F 00D20905
	v_cmp_u_f32_e64 s[46:47], v84, v84                         // 000000006E04: D048002E 0002A954
	v_add3_u32 v16, v84, v19, 1                                // 000000006E0C: D1FF0010 02062754
	v_cndmask_b32_e64 v4, v16, v18, s[46:47]                   // 000000006E14: D1000004 00BA2510
	v_cmp_u_f32_e64 s[46:47], v85, v85                         // 000000006E1C: D048002E 0002AB55
	v_add3_u32 v16, v85, v19, 1                                // 000000006E24: D1FF0010 02062755
	v_cndmask_b32_e64 v5, v16, v18, s[46:47]                   // 000000006E2C: D1000005 00BA2510
	v_perm_b32 v80, v5, v4, s52                                // 000000006E34: D1ED0050 00D20905
	v_cmp_u_f32_e64 s[46:47], v86, v86                         // 000000006E3C: D048002E 0002AD56
	v_add3_u32 v16, v86, v19, 1                                // 000000006E44: D1FF0010 02062756
	v_cndmask_b32_e64 v4, v16, v18, s[46:47]                   // 000000006E4C: D1000004 00BA2510
	v_cmp_u_f32_e64 s[46:47], v87, v87                         // 000000006E54: D048002E 0002AF57
	v_add3_u32 v16, v87, v19, 1                                // 000000006E5C: D1FF0010 02062757
	v_cndmask_b32_e64 v5, v16, v18, s[46:47]                   // 000000006E64: D1000005 00BA2510
	v_perm_b32 v81, v5, v4, s52                                // 000000006E6C: D1ED0051 00D20905
	v_cmp_u_f32_e64 s[46:47], v88, v88                         // 000000006E74: D048002E 0002B158
	v_add3_u32 v16, v88, v19, 1                                // 000000006E7C: D1FF0010 02062758
	v_cndmask_b32_e64 v4, v16, v18, s[46:47]                   // 000000006E84: D1000004 00BA2510
	v_cmp_u_f32_e64 s[46:47], v89, v89                         // 000000006E8C: D048002E 0002B359
	v_add3_u32 v16, v89, v19, 1                                // 000000006E94: D1FF0010 02062759
	v_cndmask_b32_e64 v5, v16, v18, s[46:47]                   // 000000006E9C: D1000005 00BA2510
	v_perm_b32 v82, v5, v4, s52                                // 000000006EA4: D1ED0052 00D20905
	v_cmp_u_f32_e64 s[46:47], v90, v90                         // 000000006EAC: D048002E 0002B55A
	v_add3_u32 v16, v90, v19, 1                                // 000000006EB4: D1FF0010 0206275A
	v_cndmask_b32_e64 v4, v16, v18, s[46:47]                   // 000000006EBC: D1000004 00BA2510
	v_cmp_u_f32_e64 s[46:47], v91, v91                         // 000000006EC4: D048002E 0002B75B
	v_add3_u32 v16, v91, v19, 1                                // 000000006ECC: D1FF0010 0206275B
	v_cndmask_b32_e64 v5, v16, v18, s[46:47]                   // 000000006ED4: D1000005 00BA2510
	v_perm_b32 v83, v5, v4, s52                                // 000000006EDC: D1ED0053 00D20905
	v_cmp_u_f32_e64 s[46:47], v92, v92                         // 000000006EE4: D048002E 0002B95C
	v_add3_u32 v16, v92, v19, 1                                // 000000006EEC: D1FF0010 0206275C
	v_cndmask_b32_e64 v4, v16, v18, s[46:47]                   // 000000006EF4: D1000004 00BA2510
	v_cmp_u_f32_e64 s[46:47], v93, v93                         // 000000006EFC: D048002E 0002BB5D
	v_add3_u32 v16, v93, v19, 1                                // 000000006F04: D1FF0010 0206275D
	v_cndmask_b32_e64 v5, v16, v18, s[46:47]                   // 000000006F0C: D1000005 00BA2510
	v_perm_b32 v84, v5, v4, s52                                // 000000006F14: D1ED0054 00D20905
	v_cmp_u_f32_e64 s[46:47], v94, v94                         // 000000006F1C: D048002E 0002BD5E
	v_add3_u32 v16, v94, v19, 1                                // 000000006F24: D1FF0010 0206275E
	v_cndmask_b32_e64 v4, v16, v18, s[46:47]                   // 000000006F2C: D1000004 00BA2510
	v_cmp_u_f32_e64 s[46:47], v95, v95                         // 000000006F34: D048002E 0002BF5F
	v_add3_u32 v16, v95, v19, 1                                // 000000006F3C: D1FF0010 0206275F
	v_cndmask_b32_e64 v5, v16, v18, s[46:47]                   // 000000006F44: D1000005 00BA2510
	v_perm_b32 v85, v5, v4, s52                                // 000000006F4C: D1ED0055 00D20905
	v_cmp_u_f32_e64 s[46:47], v96, v96                         // 000000006F54: D048002E 0002C160
	v_add3_u32 v16, v96, v19, 1                                // 000000006F5C: D1FF0010 02062760
	v_cndmask_b32_e64 v4, v16, v18, s[46:47]                   // 000000006F64: D1000004 00BA2510
	v_cmp_u_f32_e64 s[46:47], v97, v97                         // 000000006F6C: D048002E 0002C361
	v_add3_u32 v16, v97, v19, 1                                // 000000006F74: D1FF0010 02062761
	v_cndmask_b32_e64 v5, v16, v18, s[46:47]                   // 000000006F7C: D1000005 00BA2510
	v_perm_b32 v86, v5, v4, s52                                // 000000006F84: D1ED0056 00D20905
	v_cmp_u_f32_e64 s[46:47], v98, v98                         // 000000006F8C: D048002E 0002C562
	v_add3_u32 v16, v98, v19, 1                                // 000000006F94: D1FF0010 02062762
	v_cndmask_b32_e64 v4, v16, v18, s[46:47]                   // 000000006F9C: D1000004 00BA2510
	v_cmp_u_f32_e64 s[46:47], v99, v99                         // 000000006FA4: D048002E 0002C763
	v_add3_u32 v16, v99, v19, 1                                // 000000006FAC: D1FF0010 02062763
	v_cndmask_b32_e64 v5, v16, v18, s[46:47]                   // 000000006FB4: D1000005 00BA2510
	v_perm_b32 v87, v5, v4, s52                                // 000000006FBC: D1ED0057 00D20905
	v_cmp_u_f32_e64 s[46:47], v100, v100                       // 000000006FC4: D048002E 0002C964
	v_add3_u32 v16, v100, v19, 1                               // 000000006FCC: D1FF0010 02062764
	v_cndmask_b32_e64 v4, v16, v18, s[46:47]                   // 000000006FD4: D1000004 00BA2510
	v_cmp_u_f32_e64 s[46:47], v101, v101                       // 000000006FDC: D048002E 0002CB65
	v_add3_u32 v16, v101, v19, 1                               // 000000006FE4: D1FF0010 02062765
	v_cndmask_b32_e64 v5, v16, v18, s[46:47]                   // 000000006FEC: D1000005 00BA2510
	v_perm_b32 v88, v5, v4, s52                                // 000000006FF4: D1ED0058 00D20905
	v_cmp_u_f32_e64 s[46:47], v102, v102                       // 000000006FFC: D048002E 0002CD66
	v_add3_u32 v16, v102, v19, 1                               // 000000007004: D1FF0010 02062766
	v_cndmask_b32_e64 v4, v16, v18, s[46:47]                   // 00000000700C: D1000004 00BA2510
	v_cmp_u_f32_e64 s[46:47], v103, v103                       // 000000007014: D048002E 0002CF67
	v_add3_u32 v16, v103, v19, 1                               // 00000000701C: D1FF0010 02062767
	v_cndmask_b32_e64 v5, v16, v18, s[46:47]                   // 000000007024: D1000005 00BA2510
	v_perm_b32 v89, v5, v4, s52                                // 00000000702C: D1ED0059 00D20905
	v_cmp_u_f32_e64 s[46:47], v104, v104                       // 000000007034: D048002E 0002D168
	v_add3_u32 v16, v104, v19, 1                               // 00000000703C: D1FF0010 02062768
	v_cndmask_b32_e64 v4, v16, v18, s[46:47]                   // 000000007044: D1000004 00BA2510
	v_cmp_u_f32_e64 s[46:47], v105, v105                       // 00000000704C: D048002E 0002D369
	v_add3_u32 v16, v105, v19, 1                               // 000000007054: D1FF0010 02062769
	v_cndmask_b32_e64 v5, v16, v18, s[46:47]                   // 00000000705C: D1000005 00BA2510
	v_perm_b32 v90, v5, v4, s52                                // 000000007064: D1ED005A 00D20905
	v_cmp_u_f32_e64 s[46:47], v106, v106                       // 00000000706C: D048002E 0002D56A
	v_add3_u32 v16, v106, v19, 1                               // 000000007074: D1FF0010 0206276A
	v_cndmask_b32_e64 v4, v16, v18, s[46:47]                   // 00000000707C: D1000004 00BA2510
	v_cmp_u_f32_e64 s[46:47], v107, v107                       // 000000007084: D048002E 0002D76B
	v_add3_u32 v16, v107, v19, 1                               // 00000000708C: D1FF0010 0206276B
	v_cndmask_b32_e64 v5, v16, v18, s[46:47]                   // 000000007094: D1000005 00BA2510
	v_perm_b32 v91, v5, v4, s52                                // 00000000709C: D1ED005B 00D20905
	v_cmp_u_f32_e64 s[46:47], v108, v108                       // 0000000070A4: D048002E 0002D96C
	v_add3_u32 v16, v108, v19, 1                               // 0000000070AC: D1FF0010 0206276C
	v_cndmask_b32_e64 v4, v16, v18, s[46:47]                   // 0000000070B4: D1000004 00BA2510
	v_cmp_u_f32_e64 s[46:47], v109, v109                       // 0000000070BC: D048002E 0002DB6D
	v_add3_u32 v16, v109, v19, 1                               // 0000000070C4: D1FF0010 0206276D
	v_cndmask_b32_e64 v5, v16, v18, s[46:47]                   // 0000000070CC: D1000005 00BA2510
	v_perm_b32 v92, v5, v4, s52                                // 0000000070D4: D1ED005C 00D20905
	v_cmp_u_f32_e64 s[46:47], v110, v110                       // 0000000070DC: D048002E 0002DD6E
	v_add3_u32 v16, v110, v19, 1                               // 0000000070E4: D1FF0010 0206276E
	v_cndmask_b32_e64 v4, v16, v18, s[46:47]                   // 0000000070EC: D1000004 00BA2510
	v_cmp_u_f32_e64 s[46:47], v111, v111                       // 0000000070F4: D048002E 0002DF6F
	v_add3_u32 v16, v111, v19, 1                               // 0000000070FC: D1FF0010 0206276F
	v_cndmask_b32_e64 v5, v16, v18, s[46:47]                   // 000000007104: D1000005 00BA2510
	v_perm_b32 v93, v5, v4, s52                                // 00000000710C: D1ED005D 00D20905
	v_cmp_u_f32_e64 s[46:47], v112, v112                       // 000000007114: D048002E 0002E170
	v_add3_u32 v16, v112, v19, 1                               // 00000000711C: D1FF0010 02062770
	v_cndmask_b32_e64 v4, v16, v18, s[46:47]                   // 000000007124: D1000004 00BA2510
	v_cmp_u_f32_e64 s[46:47], v113, v113                       // 00000000712C: D048002E 0002E371
	v_add3_u32 v16, v113, v19, 1                               // 000000007134: D1FF0010 02062771
	v_cndmask_b32_e64 v5, v16, v18, s[46:47]                   // 00000000713C: D1000005 00BA2510
	v_perm_b32 v94, v5, v4, s52                                // 000000007144: D1ED005E 00D20905
	v_cmp_u_f32_e64 s[46:47], v114, v114                       // 00000000714C: D048002E 0002E572
	v_add3_u32 v16, v114, v19, 1                               // 000000007154: D1FF0010 02062772
	v_cndmask_b32_e64 v4, v16, v18, s[46:47]                   // 00000000715C: D1000004 00BA2510
	v_cmp_u_f32_e64 s[46:47], v115, v115                       // 000000007164: D048002E 0002E773
	v_add3_u32 v16, v115, v19, 1                               // 00000000716C: D1FF0010 02062773
	v_cndmask_b32_e64 v5, v16, v18, s[46:47]                   // 000000007174: D1000005 00BA2510
	v_perm_b32 v95, v5, v4, s52                                // 00000000717C: D1ED005F 00D20905
	v_cmp_u_f32_e64 s[46:47], v116, v116                       // 000000007184: D048002E 0002E974
	v_add3_u32 v16, v116, v19, 1                               // 00000000718C: D1FF0010 02062774
	v_cndmask_b32_e64 v4, v16, v18, s[46:47]                   // 000000007194: D1000004 00BA2510
	v_cmp_u_f32_e64 s[46:47], v117, v117                       // 00000000719C: D048002E 0002EB75
	v_add3_u32 v16, v117, v19, 1                               // 0000000071A4: D1FF0010 02062775
	v_cndmask_b32_e64 v5, v16, v18, s[46:47]                   // 0000000071AC: D1000005 00BA2510
	v_perm_b32 v96, v5, v4, s52                                // 0000000071B4: D1ED0060 00D20905
	v_cmp_u_f32_e64 s[46:47], v118, v118                       // 0000000071BC: D048002E 0002ED76
	v_add3_u32 v16, v118, v19, 1                               // 0000000071C4: D1FF0010 02062776
	v_cndmask_b32_e64 v4, v16, v18, s[46:47]                   // 0000000071CC: D1000004 00BA2510
	v_cmp_u_f32_e64 s[46:47], v119, v119                       // 0000000071D4: D048002E 0002EF77
	v_add3_u32 v16, v119, v19, 1                               // 0000000071DC: D1FF0010 02062777
	v_cndmask_b32_e64 v5, v16, v18, s[46:47]                   // 0000000071E4: D1000005 00BA2510
	v_perm_b32 v97, v5, v4, s52                                // 0000000071EC: D1ED0061 00D20905
	v_cmp_u_f32_e64 s[46:47], v120, v120                       // 0000000071F4: D048002E 0002F178
	v_add3_u32 v16, v120, v19, 1                               // 0000000071FC: D1FF0010 02062778
	v_cndmask_b32_e64 v4, v16, v18, s[46:47]                   // 000000007204: D1000004 00BA2510
	v_cmp_u_f32_e64 s[46:47], v121, v121                       // 00000000720C: D048002E 0002F379
	v_add3_u32 v16, v121, v19, 1                               // 000000007214: D1FF0010 02062779
	v_cndmask_b32_e64 v5, v16, v18, s[46:47]                   // 00000000721C: D1000005 00BA2510
	v_perm_b32 v98, v5, v4, s52                                // 000000007224: D1ED0062 00D20905
	v_cmp_u_f32_e64 s[46:47], v122, v122                       // 00000000722C: D048002E 0002F57A
	v_add3_u32 v16, v122, v19, 1                               // 000000007234: D1FF0010 0206277A
	v_cndmask_b32_e64 v4, v16, v18, s[46:47]                   // 00000000723C: D1000004 00BA2510
	v_cmp_u_f32_e64 s[46:47], v123, v123                       // 000000007244: D048002E 0002F77B
	v_add3_u32 v16, v123, v19, 1                               // 00000000724C: D1FF0010 0206277B
	v_cndmask_b32_e64 v5, v16, v18, s[46:47]                   // 000000007254: D1000005 00BA2510
	v_perm_b32 v99, v5, v4, s52                                // 00000000725C: D1ED0063 00D20905
	v_cmp_u_f32_e64 s[46:47], v124, v124                       // 000000007264: D048002E 0002F97C
	v_add3_u32 v16, v124, v19, 1                               // 00000000726C: D1FF0010 0206277C
	v_cndmask_b32_e64 v4, v16, v18, s[46:47]                   // 000000007274: D1000004 00BA2510
	v_cmp_u_f32_e64 s[46:47], v125, v125                       // 00000000727C: D048002E 0002FB7D
	v_add3_u32 v16, v125, v19, 1                               // 000000007284: D1FF0010 0206277D
	v_cndmask_b32_e64 v5, v16, v18, s[46:47]                   // 00000000728C: D1000005 00BA2510
	v_perm_b32 v100, v5, v4, s52                               // 000000007294: D1ED0064 00D20905
	v_cmp_u_f32_e64 s[46:47], v126, v126                       // 00000000729C: D048002E 0002FD7E
	v_add3_u32 v16, v126, v19, 1                               // 0000000072A4: D1FF0010 0206277E
	v_cndmask_b32_e64 v4, v16, v18, s[46:47]                   // 0000000072AC: D1000004 00BA2510
	v_cmp_u_f32_e64 s[46:47], v127, v127                       // 0000000072B4: D048002E 0002FF7F
	v_add3_u32 v16, v127, v19, 1                               // 0000000072BC: D1FF0010 0206277F
	v_cndmask_b32_e64 v5, v16, v18, s[46:47]                   // 0000000072C4: D1000005 00BA2510
	v_perm_b32 v101, v5, v4, s52                               // 0000000072CC: D1ED0065 00D20905
	v_cmp_u_f32_e64 s[46:47], v128, v128                       // 0000000072D4: D048002E 00030180
	v_add3_u32 v16, v128, v19, 1                               // 0000000072DC: D1FF0010 02062780
	v_cndmask_b32_e64 v4, v16, v18, s[46:47]                   // 0000000072E4: D1000004 00BA2510
	v_cmp_u_f32_e64 s[46:47], v129, v129                       // 0000000072EC: D048002E 00030381
	v_add3_u32 v16, v129, v19, 1                               // 0000000072F4: D1FF0010 02062781
	v_cndmask_b32_e64 v5, v16, v18, s[46:47]                   // 0000000072FC: D1000005 00BA2510
	v_perm_b32 v102, v5, v4, s52                               // 000000007304: D1ED0066 00D20905
	v_cmp_u_f32_e64 s[46:47], v130, v130                       // 00000000730C: D048002E 00030582
	v_add3_u32 v16, v130, v19, 1                               // 000000007314: D1FF0010 02062782
	v_cndmask_b32_e64 v4, v16, v18, s[46:47]                   // 00000000731C: D1000004 00BA2510
	v_cmp_u_f32_e64 s[46:47], v131, v131                       // 000000007324: D048002E 00030783
	v_add3_u32 v16, v131, v19, 1                               // 00000000732C: D1FF0010 02062783
	v_cndmask_b32_e64 v5, v16, v18, s[46:47]                   // 000000007334: D1000005 00BA2510
	v_perm_b32 v103, v5, v4, s52                               // 00000000733C: D1ED0067 00D20905
	ds_write_b64 v20, v[76:77]                                 // 000000007344: D89A0000 00004C14
	ds_write_b64 v20, v[78:79] offset:4352                     // 00000000734C: D89A1100 00004E14
	ds_write_b64 v20, v[80:81] offset:8704                     // 000000007354: D89A2200 00005014
	ds_write_b64 v20, v[82:83] offset:13056                    // 00000000735C: D89A3300 00005214
	ds_write_b64 v20, v[84:85] offset:17408                    // 000000007364: D89A4400 00005414
	ds_write_b64 v20, v[86:87] offset:21760                    // 00000000736C: D89A5500 00005614
	ds_write_b64 v20, v[88:89] offset:26112                    // 000000007374: D89A6600 00005814
	ds_write_b64 v20, v[90:91] offset:2176                     // 00000000737C: D89A0880 00005A14
	ds_write_b64 v20, v[92:93] offset:6528                     // 000000007384: D89A1980 00005C14
	ds_write_b64 v20, v[94:95] offset:10880                    // 00000000738C: D89A2A80 00005E14
	ds_write_b64 v20, v[96:97] offset:15232                    // 000000007394: D89A3B80 00006014
	ds_write_b64 v20, v[98:99] offset:19584                    // 00000000739C: D89A4C80 00006214
	ds_write_b64 v20, v[100:101] offset:23936                  // 0000000073A4: D89A5D80 00006414
	ds_write_b64 v20, v[102:103] offset:28288                  // 0000000073AC: D89A6E80 00006614
	v_lshrrev_b32_e32 v4, 5, v0                                // 0000000073B4: 20080085
	v_xor_b32_e32 v5, 1, v4                                    // 0000000073B8: 2A0A0881
	s_mul_i32 s60, s65, 2                                      // 0000000073BC: 923C8241
	s_cmp_eq_u32 s88, 0                                        // 0000000073C0: BF068058
	s_cselect_b32 s61, 1, 4                                    // 0000000073C4: 853D8481
	s_mul_i32 s60, s61, s60                                    // 0000000073C8: 923C3C3D
	v_readlane_b32 s82, v3, 0                                  // 0000000073CC: D2890052 00010103
	s_lshr_b32 s61, s82, 24                                    // 0000000073D4: 8F3D9852
	s_and_b32 s82, s82, 0xffffff                               // 0000000073D8: 8652FF52 00FFFFFF
	s_mul_i32 s82, s82, s71                                    // 0000000073E0: 92524752
	s_mul_i32 s61, s60, s61                                    // 0000000073E4: 923D3D3C
	s_add_u32 s82, s82, s61                                    // 0000000073E8: 80523D52
	v_mul_lo_u32 v6, v5, s82                                   // 0000000073EC: D2850006 0000A505
	v_readlane_b32 s82, v3, 1                                  // 0000000073F4: D2890052 00010303
	s_lshr_b32 s61, s82, 24                                    // 0000000073FC: 8F3D9852
	s_and_b32 s82, s82, 0xffffff                               // 000000007400: 8652FF52 00FFFFFF
	s_mul_i32 s82, s82, s71                                    // 000000007408: 92524752
	s_mul_i32 s61, s60, s61                                    // 00000000740C: 923D3D3C
	s_add_u32 s82, s82, s61                                    // 000000007410: 80523D52
	v_mul_lo_u32 v7, v4, s82                                   // 000000007414: D2850007 0000A504
	v_add_u32_e32 v58, v6, v7                                  // 00000000741C: 68740F06
	v_readlane_b32 s82, v3, 2                                  // 000000007420: D2890052 00010503
	s_lshr_b32 s61, s82, 24                                    // 000000007428: 8F3D9852
	s_and_b32 s82, s82, 0xffffff                               // 00000000742C: 8652FF52 00FFFFFF
	s_mul_i32 s82, s82, s71                                    // 000000007434: 92524752
	s_mul_i32 s61, s60, s61                                    // 000000007438: 923D3D3C
	s_add_u32 s82, s82, s61                                    // 00000000743C: 80523D52
	v_mul_lo_u32 v6, v5, s82                                   // 000000007440: D2850006 0000A505
	v_readlane_b32 s82, v3, 3                                  // 000000007448: D2890052 00010703
	s_lshr_b32 s61, s82, 24                                    // 000000007450: 8F3D9852
	s_and_b32 s82, s82, 0xffffff                               // 000000007454: 8652FF52 00FFFFFF
	s_mul_i32 s82, s82, s71                                    // 00000000745C: 92524752
	s_mul_i32 s61, s60, s61                                    // 000000007460: 923D3D3C
	s_add_u32 s82, s82, s61                                    // 000000007464: 80523D52
	v_mul_lo_u32 v7, v4, s82                                   // 000000007468: D2850007 0000A504
	v_add_u32_e32 v59, v6, v7                                  // 000000007470: 68760F06
	v_readlane_b32 s82, v3, 4                                  // 000000007474: D2890052 00010903
	s_lshr_b32 s61, s82, 24                                    // 00000000747C: 8F3D9852
	s_and_b32 s82, s82, 0xffffff                               // 000000007480: 8652FF52 00FFFFFF
	s_mul_i32 s82, s82, s71                                    // 000000007488: 92524752
	s_mul_i32 s61, s60, s61                                    // 00000000748C: 923D3D3C
	s_add_u32 s82, s82, s61                                    // 000000007490: 80523D52
	v_mul_lo_u32 v6, v5, s82                                   // 000000007494: D2850006 0000A505
	v_readlane_b32 s82, v3, 5                                  // 00000000749C: D2890052 00010B03
	s_lshr_b32 s61, s82, 24                                    // 0000000074A4: 8F3D9852
	s_and_b32 s82, s82, 0xffffff                               // 0000000074A8: 8652FF52 00FFFFFF
	s_mul_i32 s82, s82, s71                                    // 0000000074B0: 92524752
	s_mul_i32 s61, s60, s61                                    // 0000000074B4: 923D3D3C
	s_add_u32 s82, s82, s61                                    // 0000000074B8: 80523D52
	v_mul_lo_u32 v7, v4, s82                                   // 0000000074BC: D2850007 0000A504
	v_add_u32_e32 v60, v6, v7                                  // 0000000074C4: 68780F06
	v_readlane_b32 s82, v3, 6                                  // 0000000074C8: D2890052 00010D03
	s_lshr_b32 s61, s82, 24                                    // 0000000074D0: 8F3D9852
	s_and_b32 s82, s82, 0xffffff                               // 0000000074D4: 8652FF52 00FFFFFF
	s_mul_i32 s82, s82, s71                                    // 0000000074DC: 92524752
	s_mul_i32 s61, s60, s61                                    // 0000000074E0: 923D3D3C
	s_add_u32 s82, s82, s61                                    // 0000000074E4: 80523D52
	v_mul_lo_u32 v6, v5, s82                                   // 0000000074E8: D2850006 0000A505
	v_readlane_b32 s82, v3, 7                                  // 0000000074F0: D2890052 00010F03
	s_lshr_b32 s61, s82, 24                                    // 0000000074F8: 8F3D9852
	s_and_b32 s82, s82, 0xffffff                               // 0000000074FC: 8652FF52 00FFFFFF
	s_mul_i32 s82, s82, s71                                    // 000000007504: 92524752
	s_mul_i32 s61, s60, s61                                    // 000000007508: 923D3D3C
	s_add_u32 s82, s82, s61                                    // 00000000750C: 80523D52
	v_mul_lo_u32 v7, v4, s82                                   // 000000007510: D2850007 0000A504
	v_add_u32_e32 v61, v6, v7                                  // 000000007518: 687A0F06
	v_readlane_b32 s82, v3, 8                                  // 00000000751C: D2890052 00011103
	s_lshr_b32 s61, s82, 24                                    // 000000007524: 8F3D9852
	s_and_b32 s82, s82, 0xffffff                               // 000000007528: 8652FF52 00FFFFFF
	s_mul_i32 s82, s82, s71                                    // 000000007530: 92524752
	s_mul_i32 s61, s60, s61                                    // 000000007534: 923D3D3C
	s_add_u32 s82, s82, s61                                    // 000000007538: 80523D52
	v_mul_lo_u32 v6, v5, s82                                   // 00000000753C: D2850006 0000A505
	v_readlane_b32 s82, v3, 9                                  // 000000007544: D2890052 00011303
	s_lshr_b32 s61, s82, 24                                    // 00000000754C: 8F3D9852
	s_and_b32 s82, s82, 0xffffff                               // 000000007550: 8652FF52 00FFFFFF
	s_mul_i32 s82, s82, s71                                    // 000000007558: 92524752
	s_mul_i32 s61, s60, s61                                    // 00000000755C: 923D3D3C
	s_add_u32 s82, s82, s61                                    // 000000007560: 80523D52
	v_mul_lo_u32 v7, v4, s82                                   // 000000007564: D2850007 0000A504
	v_add_u32_e32 v62, v6, v7                                  // 00000000756C: 687C0F06
	v_readlane_b32 s82, v3, 10                                 // 000000007570: D2890052 00011503
	s_lshr_b32 s61, s82, 24                                    // 000000007578: 8F3D9852
	s_and_b32 s82, s82, 0xffffff                               // 00000000757C: 8652FF52 00FFFFFF
	s_mul_i32 s82, s82, s71                                    // 000000007584: 92524752
	s_mul_i32 s61, s60, s61                                    // 000000007588: 923D3D3C
	s_add_u32 s82, s82, s61                                    // 00000000758C: 80523D52
	v_mul_lo_u32 v6, v5, s82                                   // 000000007590: D2850006 0000A505
	v_readlane_b32 s82, v3, 11                                 // 000000007598: D2890052 00011703
	s_lshr_b32 s61, s82, 24                                    // 0000000075A0: 8F3D9852
	s_and_b32 s82, s82, 0xffffff                               // 0000000075A4: 8652FF52 00FFFFFF
	s_mul_i32 s82, s82, s71                                    // 0000000075AC: 92524752
	s_mul_i32 s61, s60, s61                                    // 0000000075B0: 923D3D3C
	s_add_u32 s82, s82, s61                                    // 0000000075B4: 80523D52
	v_mul_lo_u32 v7, v4, s82                                   // 0000000075B8: D2850007 0000A504
	v_add_u32_e32 v63, v6, v7                                  // 0000000075C0: 687E0F06
	v_readlane_b32 s82, v3, 12                                 // 0000000075C4: D2890052 00011903
	s_lshr_b32 s61, s82, 24                                    // 0000000075CC: 8F3D9852
	s_and_b32 s82, s82, 0xffffff                               // 0000000075D0: 8652FF52 00FFFFFF
	s_mul_i32 s82, s82, s71                                    // 0000000075D8: 92524752
	s_mul_i32 s61, s60, s61                                    // 0000000075DC: 923D3D3C
	s_add_u32 s82, s82, s61                                    // 0000000075E0: 80523D52
	v_mul_lo_u32 v6, v5, s82                                   // 0000000075E4: D2850006 0000A505
	v_readlane_b32 s82, v3, 13                                 // 0000000075EC: D2890052 00011B03
	s_lshr_b32 s61, s82, 24                                    // 0000000075F4: 8F3D9852
	s_and_b32 s82, s82, 0xffffff                               // 0000000075F8: 8652FF52 00FFFFFF
	s_mul_i32 s82, s82, s71                                    // 000000007600: 92524752
	s_mul_i32 s61, s60, s61                                    // 000000007604: 923D3D3C
	s_add_u32 s82, s82, s61                                    // 000000007608: 80523D52
	v_mul_lo_u32 v7, v4, s82                                   // 00000000760C: D2850007 0000A504
	v_add_u32_e32 v64, v6, v7                                  // 000000007614: 68800F06
	v_readlane_b32 s82, v3, 14                                 // 000000007618: D2890052 00011D03
	s_lshr_b32 s61, s82, 24                                    // 000000007620: 8F3D9852
	s_and_b32 s82, s82, 0xffffff                               // 000000007624: 8652FF52 00FFFFFF
	s_mul_i32 s82, s82, s71                                    // 00000000762C: 92524752
	s_mul_i32 s61, s60, s61                                    // 000000007630: 923D3D3C
	s_add_u32 s82, s82, s61                                    // 000000007634: 80523D52
	v_mul_lo_u32 v6, v5, s82                                   // 000000007638: D2850006 0000A505
	v_readlane_b32 s82, v3, 15                                 // 000000007640: D2890052 00011F03
	s_lshr_b32 s61, s82, 24                                    // 000000007648: 8F3D9852
	s_and_b32 s82, s82, 0xffffff                               // 00000000764C: 8652FF52 00FFFFFF
	s_mul_i32 s82, s82, s71                                    // 000000007654: 92524752
	s_mul_i32 s61, s60, s61                                    // 000000007658: 923D3D3C
	s_add_u32 s82, s82, s61                                    // 00000000765C: 80523D52
	v_mul_lo_u32 v7, v4, s82                                   // 000000007660: D2850007 0000A504
	v_add_u32_e32 v65, v6, v7                                  // 000000007668: 68820F06
	v_readlane_b32 s82, v3, 16                                 // 00000000766C: D2890052 00012103
	s_lshr_b32 s61, s82, 24                                    // 000000007674: 8F3D9852
	s_and_b32 s82, s82, 0xffffff                               // 000000007678: 8652FF52 00FFFFFF
	s_mul_i32 s82, s82, s71                                    // 000000007680: 92524752
	s_mul_i32 s61, s60, s61                                    // 000000007684: 923D3D3C
	s_add_u32 s82, s82, s61                                    // 000000007688: 80523D52
	v_mul_lo_u32 v6, v5, s82                                   // 00000000768C: D2850006 0000A505
	v_readlane_b32 s82, v3, 17                                 // 000000007694: D2890052 00012303
	s_lshr_b32 s61, s82, 24                                    // 00000000769C: 8F3D9852
	s_and_b32 s82, s82, 0xffffff                               // 0000000076A0: 8652FF52 00FFFFFF
	s_mul_i32 s82, s82, s71                                    // 0000000076A8: 92524752
	s_mul_i32 s61, s60, s61                                    // 0000000076AC: 923D3D3C
	s_add_u32 s82, s82, s61                                    // 0000000076B0: 80523D52
	v_mul_lo_u32 v7, v4, s82                                   // 0000000076B4: D2850007 0000A504
	v_add_u32_e32 v66, v6, v7                                  // 0000000076BC: 68840F06
	v_readlane_b32 s82, v3, 18                                 // 0000000076C0: D2890052 00012503
	s_lshr_b32 s61, s82, 24                                    // 0000000076C8: 8F3D9852
	s_and_b32 s82, s82, 0xffffff                               // 0000000076CC: 8652FF52 00FFFFFF
	s_mul_i32 s82, s82, s71                                    // 0000000076D4: 92524752
	s_mul_i32 s61, s60, s61                                    // 0000000076D8: 923D3D3C
	s_add_u32 s82, s82, s61                                    // 0000000076DC: 80523D52
	v_mul_lo_u32 v6, v5, s82                                   // 0000000076E0: D2850006 0000A505
	v_readlane_b32 s82, v3, 19                                 // 0000000076E8: D2890052 00012703
	s_lshr_b32 s61, s82, 24                                    // 0000000076F0: 8F3D9852
	s_and_b32 s82, s82, 0xffffff                               // 0000000076F4: 8652FF52 00FFFFFF
	s_mul_i32 s82, s82, s71                                    // 0000000076FC: 92524752
	s_mul_i32 s61, s60, s61                                    // 000000007700: 923D3D3C
	s_add_u32 s82, s82, s61                                    // 000000007704: 80523D52
	v_mul_lo_u32 v7, v4, s82                                   // 000000007708: D2850007 0000A504
	v_add_u32_e32 v67, v6, v7                                  // 000000007710: 68860F06
	v_readlane_b32 s82, v3, 20                                 // 000000007714: D2890052 00012903
	s_lshr_b32 s61, s82, 24                                    // 00000000771C: 8F3D9852
	s_and_b32 s82, s82, 0xffffff                               // 000000007720: 8652FF52 00FFFFFF
	s_mul_i32 s82, s82, s71                                    // 000000007728: 92524752
	s_mul_i32 s61, s60, s61                                    // 00000000772C: 923D3D3C
	s_add_u32 s82, s82, s61                                    // 000000007730: 80523D52
	v_mul_lo_u32 v6, v5, s82                                   // 000000007734: D2850006 0000A505
	v_readlane_b32 s82, v3, 21                                 // 00000000773C: D2890052 00012B03
	s_lshr_b32 s61, s82, 24                                    // 000000007744: 8F3D9852
	s_and_b32 s82, s82, 0xffffff                               // 000000007748: 8652FF52 00FFFFFF
	s_mul_i32 s82, s82, s71                                    // 000000007750: 92524752
	s_mul_i32 s61, s60, s61                                    // 000000007754: 923D3D3C
	s_add_u32 s82, s82, s61                                    // 000000007758: 80523D52
	v_mul_lo_u32 v7, v4, s82                                   // 00000000775C: D2850007 0000A504
	v_add_u32_e32 v68, v6, v7                                  // 000000007764: 68880F06
	v_readlane_b32 s82, v3, 22                                 // 000000007768: D2890052 00012D03
	s_lshr_b32 s61, s82, 24                                    // 000000007770: 8F3D9852
	s_and_b32 s82, s82, 0xffffff                               // 000000007774: 8652FF52 00FFFFFF
	s_mul_i32 s82, s82, s71                                    // 00000000777C: 92524752
	s_mul_i32 s61, s60, s61                                    // 000000007780: 923D3D3C
	s_add_u32 s82, s82, s61                                    // 000000007784: 80523D52
	v_mul_lo_u32 v6, v5, s82                                   // 000000007788: D2850006 0000A505
	v_readlane_b32 s82, v3, 23                                 // 000000007790: D2890052 00012F03
	s_lshr_b32 s61, s82, 24                                    // 000000007798: 8F3D9852
	s_and_b32 s82, s82, 0xffffff                               // 00000000779C: 8652FF52 00FFFFFF
	s_mul_i32 s82, s82, s71                                    // 0000000077A4: 92524752
	s_mul_i32 s61, s60, s61                                    // 0000000077A8: 923D3D3C
	s_add_u32 s82, s82, s61                                    // 0000000077AC: 80523D52
	v_mul_lo_u32 v7, v4, s82                                   // 0000000077B0: D2850007 0000A504
	v_add_u32_e32 v69, v6, v7                                  // 0000000077B8: 688A0F06
	v_readlane_b32 s82, v3, 24                                 // 0000000077BC: D2890052 00013103
	s_lshr_b32 s61, s82, 24                                    // 0000000077C4: 8F3D9852
	s_and_b32 s82, s82, 0xffffff                               // 0000000077C8: 8652FF52 00FFFFFF
	s_mul_i32 s82, s82, s71                                    // 0000000077D0: 92524752
	s_mul_i32 s61, s60, s61                                    // 0000000077D4: 923D3D3C
	s_add_u32 s82, s82, s61                                    // 0000000077D8: 80523D52
	v_mul_lo_u32 v6, v5, s82                                   // 0000000077DC: D2850006 0000A505
	v_readlane_b32 s82, v3, 25                                 // 0000000077E4: D2890052 00013303
	s_lshr_b32 s61, s82, 24                                    // 0000000077EC: 8F3D9852
	s_and_b32 s82, s82, 0xffffff                               // 0000000077F0: 8652FF52 00FFFFFF
	s_mul_i32 s82, s82, s71                                    // 0000000077F8: 92524752
	s_mul_i32 s61, s60, s61                                    // 0000000077FC: 923D3D3C
	s_add_u32 s82, s82, s61                                    // 000000007800: 80523D52
	v_mul_lo_u32 v7, v4, s82                                   // 000000007804: D2850007 0000A504
	v_add_u32_e32 v70, v6, v7                                  // 00000000780C: 688C0F06
	v_readlane_b32 s82, v3, 26                                 // 000000007810: D2890052 00013503
	s_lshr_b32 s61, s82, 24                                    // 000000007818: 8F3D9852
	s_and_b32 s82, s82, 0xffffff                               // 00000000781C: 8652FF52 00FFFFFF
	s_mul_i32 s82, s82, s71                                    // 000000007824: 92524752
	s_mul_i32 s61, s60, s61                                    // 000000007828: 923D3D3C
	s_add_u32 s82, s82, s61                                    // 00000000782C: 80523D52
	v_mul_lo_u32 v6, v5, s82                                   // 000000007830: D2850006 0000A505
	v_readlane_b32 s82, v3, 27                                 // 000000007838: D2890052 00013703
	s_lshr_b32 s61, s82, 24                                    // 000000007840: 8F3D9852
	s_and_b32 s82, s82, 0xffffff                               // 000000007844: 8652FF52 00FFFFFF
	s_mul_i32 s82, s82, s71                                    // 00000000784C: 92524752
	s_mul_i32 s61, s60, s61                                    // 000000007850: 923D3D3C
	s_add_u32 s82, s82, s61                                    // 000000007854: 80523D52
	v_mul_lo_u32 v7, v4, s82                                   // 000000007858: D2850007 0000A504
	v_add_u32_e32 v71, v6, v7                                  // 000000007860: 688E0F06
	v_and_b32_e32 v4, 31, v0                                   // 000000007864: 2608009F
	v_lshrrev_b32_e32 v4, 1, v4                                // 000000007868: 20080881
	s_cmp_eq_u32 s88, 0                                        // 00000000786C: BF068058
	s_cselect_b32 s61, 2, 4                                    // 000000007870: 853D8482
	v_mul_lo_u32 v4, v4, s61                                   // 000000007874: D2850004 00007B04
	v_and_b32_e64 v5, v0, 1                                    // 00000000787C: D1130005 00010300
	v_add_u32_e32 v4, v4, v5                                   // 000000007884: 68080B04
	v_lshlrev_b32_e32 v4, 2, v4                                // 000000007888: 24080882
	v_add_u32_e32 v58, v58, v4                                 // 00000000788C: 6874093A
	v_add_u32_e32 v59, v59, v4                                 // 000000007890: 6876093B
	v_add_u32_e32 v60, v60, v4                                 // 000000007894: 6878093C
	v_add_u32_e32 v61, v61, v4                                 // 000000007898: 687A093D
	v_add_u32_e32 v62, v62, v4                                 // 00000000789C: 687C093E
	v_add_u32_e32 v63, v63, v4                                 // 0000000078A0: 687E093F
	v_add_u32_e32 v64, v64, v4                                 // 0000000078A4: 68800940
	v_add_u32_e32 v65, v65, v4                                 // 0000000078A8: 68820941
	v_add_u32_e32 v66, v66, v4                                 // 0000000078AC: 68840942
	v_add_u32_e32 v67, v67, v4                                 // 0000000078B0: 68860943
	v_add_u32_e32 v68, v68, v4                                 // 0000000078B4: 68880944
	v_add_u32_e32 v69, v69, v4                                 // 0000000078B8: 688A0945
	v_add_u32_e32 v70, v70, v4                                 // 0000000078BC: 688C0946
	v_add_u32_e32 v71, v71, v4                                 // 0000000078C0: 688E0947
	s_waitcnt lgkmcnt(0)                                       // 0000000078C4: BF8CC07F
	s_barrier                                                  // 0000000078C8: BF8A0000
	ds_read_b32 v76, v21                                       // 0000000078CC: D86C0000 4C000015
	ds_read_b32 v77, v21 offset:64                             // 0000000078D4: D86C0040 4D000015
	ds_read_b32 v78, v21 offset:2176                           // 0000000078DC: D86C0880 4E000015
	ds_read_b32 v79, v21 offset:2240                           // 0000000078E4: D86C08C0 4F000015
	ds_read_b32 v80, v21 offset:4352                           // 0000000078EC: D86C1100 50000015
	ds_read_b32 v81, v21 offset:4416                           // 0000000078F4: D86C1140 51000015
	ds_read_b32 v82, v21 offset:6528                           // 0000000078FC: D86C1980 52000015
	ds_read_b32 v83, v21 offset:6592                           // 000000007904: D86C19C0 53000015
	ds_read_b32 v84, v21 offset:8704                           // 00000000790C: D86C2200 54000015
	ds_read_b32 v85, v21 offset:8768                           // 000000007914: D86C2240 55000015
	ds_read_b32 v86, v21 offset:10880                          // 00000000791C: D86C2A80 56000015
	ds_read_b32 v87, v21 offset:10944                          // 000000007924: D86C2AC0 57000015
	ds_read_b32 v88, v21 offset:13056                          // 00000000792C: D86C3300 58000015
	ds_read_b32 v89, v21 offset:13120                          // 000000007934: D86C3340 59000015
	ds_read_b32 v90, v21 offset:15232                          // 00000000793C: D86C3B80 5A000015
	ds_read_b32 v91, v21 offset:15296                          // 000000007944: D86C3BC0 5B000015
	ds_read_b32 v92, v21 offset:17408                          // 00000000794C: D86C4400 5C000015
	ds_read_b32 v93, v21 offset:17472                          // 000000007954: D86C4440 5D000015
	ds_read_b32 v94, v21 offset:19584                          // 00000000795C: D86C4C80 5E000015
	ds_read_b32 v95, v21 offset:19648                          // 000000007964: D86C4CC0 5F000015
	ds_read_b32 v96, v21 offset:21760                          // 00000000796C: D86C5500 60000015
	ds_read_b32 v97, v21 offset:21824                          // 000000007974: D86C5540 61000015
	ds_read_b32 v98, v21 offset:23936                          // 00000000797C: D86C5D80 62000015
	ds_read_b32 v99, v21 offset:24000                          // 000000007984: D86C5DC0 63000015
	ds_read_b32 v100, v21 offset:26112                         // 00000000798C: D86C6600 64000015
	ds_read_b32 v101, v21 offset:26176                         // 000000007994: D86C6640 65000015
	ds_read_b32 v102, v21 offset:28288                         // 00000000799C: D86C6E80 66000015
	ds_read_b32 v103, v21 offset:28352                         // 0000000079A4: D86C6EC0 67000015
	s_waitcnt lgkmcnt(0)                                       // 0000000079AC: BF8CC07F
	s_mov_b32 s36, -1                                          // 0000000079B0: BEA400C1
	s_mov_b32 s37, -1                                          // 0000000079B4: BEA500C1
	v_mov_b32_e32 v7, 0                                        // 0000000079B8: 7E0E0280
	s_or_b32 s9, s9, 0x40000                                   // 0000000079BC: 8709FF09 00040000
	s_mov_b64 exec, s[36:37]                                   // 0000000079C4: BEFE0124
	v_mov_b32_e32 v6, v58                                      // 0000000079C8: 7E0C033A
	s_mov_b64 s[60:61], 0                                      // 0000000079CC: BEBC0180
	v_readlane_b32 s82, v3, 0                                  // 0000000079D0: D2890052 00010103
	s_and_b32 s82, s82, 0xffffff                               // 0000000079D8: 8652FF52 00FFFFFF
	s_cmp_lt_u32 s82, s66                                      // 0000000079E0: BF0A4252
	s_cselect_b32 s20, s36, s60                                // 0000000079E4: 85143C24
	v_readlane_b32 s82, v3, 1                                  // 0000000079E8: D2890052 00010303
	s_and_b32 s82, s82, 0xffffff                               // 0000000079F0: 8652FF52 00FFFFFF
	s_cmp_lt_u32 s82, s66                                      // 0000000079F8: BF0A4252
	s_cselect_b32 s21, s36, s60                                // 0000000079FC: 85153C24
	s_mov_b64 exec, s[20:21]                                   // 000000007A00: BEFE0114
	buffer_store_dword v76, v6, s[8:11], 0 offen               // 000000007A04: E0701000 80024C06
	buffer_store_dword v78, v6, s[8:11], 0 offen offset:128    // 000000007A0C: E0701080 80024E06
	s_mov_b64 exec, s[36:37]                                   // 000000007A14: BEFE0124
	v_mov_b32_e32 v6, v59                                      // 000000007A18: 7E0C033B
	s_mov_b64 s[60:61], 0                                      // 000000007A1C: BEBC0180
	v_readlane_b32 s82, v3, 2                                  // 000000007A20: D2890052 00010503
	s_and_b32 s82, s82, 0xffffff                               // 000000007A28: 8652FF52 00FFFFFF
	s_cmp_lt_u32 s82, s66                                      // 000000007A30: BF0A4252
	s_cselect_b32 s20, s36, s60                                // 000000007A34: 85143C24
	v_readlane_b32 s82, v3, 3                                  // 000000007A38: D2890052 00010703
	s_and_b32 s82, s82, 0xffffff                               // 000000007A40: 8652FF52 00FFFFFF
	s_cmp_lt_u32 s82, s66                                      // 000000007A48: BF0A4252
	s_cselect_b32 s21, s36, s60                                // 000000007A4C: 85153C24
	s_mov_b64 exec, s[20:21]                                   // 000000007A50: BEFE0114
	buffer_store_dword v77, v6, s[8:11], 0 offen               // 000000007A54: E0701000 80024D06
	buffer_store_dword v79, v6, s[8:11], 0 offen offset:128    // 000000007A5C: E0701080 80024F06
	s_mov_b64 exec, s[36:37]                                   // 000000007A64: BEFE0124
	v_mov_b32_e32 v6, v60                                      // 000000007A68: 7E0C033C
	s_mov_b64 s[60:61], 0                                      // 000000007A6C: BEBC0180
	v_readlane_b32 s82, v3, 4                                  // 000000007A70: D2890052 00010903
	s_and_b32 s82, s82, 0xffffff                               // 000000007A78: 8652FF52 00FFFFFF
	s_cmp_lt_u32 s82, s66                                      // 000000007A80: BF0A4252
	s_cselect_b32 s20, s36, s60                                // 000000007A84: 85143C24
	v_readlane_b32 s82, v3, 5                                  // 000000007A88: D2890052 00010B03
	s_and_b32 s82, s82, 0xffffff                               // 000000007A90: 8652FF52 00FFFFFF
	s_cmp_lt_u32 s82, s66                                      // 000000007A98: BF0A4252
	s_cselect_b32 s21, s36, s60                                // 000000007A9C: 85153C24
	s_mov_b64 exec, s[20:21]                                   // 000000007AA0: BEFE0114
	buffer_store_dword v80, v6, s[8:11], 0 offen               // 000000007AA4: E0701000 80025006
	buffer_store_dword v82, v6, s[8:11], 0 offen offset:128    // 000000007AAC: E0701080 80025206
	s_mov_b64 exec, s[36:37]                                   // 000000007AB4: BEFE0124
	v_mov_b32_e32 v6, v61                                      // 000000007AB8: 7E0C033D
	s_mov_b64 s[60:61], 0                                      // 000000007ABC: BEBC0180
	v_readlane_b32 s82, v3, 6                                  // 000000007AC0: D2890052 00010D03
	s_and_b32 s82, s82, 0xffffff                               // 000000007AC8: 8652FF52 00FFFFFF
	s_cmp_lt_u32 s82, s66                                      // 000000007AD0: BF0A4252
	s_cselect_b32 s20, s36, s60                                // 000000007AD4: 85143C24
	v_readlane_b32 s82, v3, 7                                  // 000000007AD8: D2890052 00010F03
	s_and_b32 s82, s82, 0xffffff                               // 000000007AE0: 8652FF52 00FFFFFF
	s_cmp_lt_u32 s82, s66                                      // 000000007AE8: BF0A4252
	s_cselect_b32 s21, s36, s60                                // 000000007AEC: 85153C24
	s_mov_b64 exec, s[20:21]                                   // 000000007AF0: BEFE0114
	buffer_store_dword v81, v6, s[8:11], 0 offen               // 000000007AF4: E0701000 80025106
	buffer_store_dword v83, v6, s[8:11], 0 offen offset:128    // 000000007AFC: E0701080 80025306
	s_mov_b64 exec, s[36:37]                                   // 000000007B04: BEFE0124
	v_mov_b32_e32 v6, v62                                      // 000000007B08: 7E0C033E
	s_mov_b64 s[60:61], 0                                      // 000000007B0C: BEBC0180
	v_readlane_b32 s82, v3, 8                                  // 000000007B10: D2890052 00011103
	s_and_b32 s82, s82, 0xffffff                               // 000000007B18: 8652FF52 00FFFFFF
	s_cmp_lt_u32 s82, s66                                      // 000000007B20: BF0A4252
	s_cselect_b32 s20, s36, s60                                // 000000007B24: 85143C24
	v_readlane_b32 s82, v3, 9                                  // 000000007B28: D2890052 00011303
	s_and_b32 s82, s82, 0xffffff                               // 000000007B30: 8652FF52 00FFFFFF
	s_cmp_lt_u32 s82, s66                                      // 000000007B38: BF0A4252
	s_cselect_b32 s21, s36, s60                                // 000000007B3C: 85153C24
	s_mov_b64 exec, s[20:21]                                   // 000000007B40: BEFE0114
	buffer_store_dword v84, v6, s[8:11], 0 offen               // 000000007B44: E0701000 80025406
	buffer_store_dword v86, v6, s[8:11], 0 offen offset:128    // 000000007B4C: E0701080 80025606
	s_mov_b64 exec, s[36:37]                                   // 000000007B54: BEFE0124
	v_mov_b32_e32 v6, v63                                      // 000000007B58: 7E0C033F
	s_mov_b64 s[60:61], 0                                      // 000000007B5C: BEBC0180
	v_readlane_b32 s82, v3, 10                                 // 000000007B60: D2890052 00011503
	s_and_b32 s82, s82, 0xffffff                               // 000000007B68: 8652FF52 00FFFFFF
	s_cmp_lt_u32 s82, s66                                      // 000000007B70: BF0A4252
	s_cselect_b32 s20, s36, s60                                // 000000007B74: 85143C24
	v_readlane_b32 s82, v3, 11                                 // 000000007B78: D2890052 00011703
	s_and_b32 s82, s82, 0xffffff                               // 000000007B80: 8652FF52 00FFFFFF
	s_cmp_lt_u32 s82, s66                                      // 000000007B88: BF0A4252
	s_cselect_b32 s21, s36, s60                                // 000000007B8C: 85153C24
	s_mov_b64 exec, s[20:21]                                   // 000000007B90: BEFE0114
	buffer_store_dword v85, v6, s[8:11], 0 offen               // 000000007B94: E0701000 80025506
	buffer_store_dword v87, v6, s[8:11], 0 offen offset:128    // 000000007B9C: E0701080 80025706
	s_mov_b64 exec, s[36:37]                                   // 000000007BA4: BEFE0124
	v_mov_b32_e32 v6, v64                                      // 000000007BA8: 7E0C0340
	s_mov_b64 s[60:61], 0                                      // 000000007BAC: BEBC0180
	v_readlane_b32 s82, v3, 12                                 // 000000007BB0: D2890052 00011903
	s_and_b32 s82, s82, 0xffffff                               // 000000007BB8: 8652FF52 00FFFFFF
	s_cmp_lt_u32 s82, s66                                      // 000000007BC0: BF0A4252
	s_cselect_b32 s20, s36, s60                                // 000000007BC4: 85143C24
	v_readlane_b32 s82, v3, 13                                 // 000000007BC8: D2890052 00011B03
	s_and_b32 s82, s82, 0xffffff                               // 000000007BD0: 8652FF52 00FFFFFF
	s_cmp_lt_u32 s82, s66                                      // 000000007BD8: BF0A4252
	s_cselect_b32 s21, s36, s60                                // 000000007BDC: 85153C24
	s_mov_b64 exec, s[20:21]                                   // 000000007BE0: BEFE0114
	buffer_store_dword v88, v6, s[8:11], 0 offen               // 000000007BE4: E0701000 80025806
	buffer_store_dword v90, v6, s[8:11], 0 offen offset:128    // 000000007BEC: E0701080 80025A06
	s_mov_b64 exec, s[36:37]                                   // 000000007BF4: BEFE0124
	v_mov_b32_e32 v6, v65                                      // 000000007BF8: 7E0C0341
	s_mov_b64 s[60:61], 0                                      // 000000007BFC: BEBC0180
	v_readlane_b32 s82, v3, 14                                 // 000000007C00: D2890052 00011D03
	s_and_b32 s82, s82, 0xffffff                               // 000000007C08: 8652FF52 00FFFFFF
	s_cmp_lt_u32 s82, s66                                      // 000000007C10: BF0A4252
	s_cselect_b32 s20, s36, s60                                // 000000007C14: 85143C24
	v_readlane_b32 s82, v3, 15                                 // 000000007C18: D2890052 00011F03
	s_and_b32 s82, s82, 0xffffff                               // 000000007C20: 8652FF52 00FFFFFF
	s_cmp_lt_u32 s82, s66                                      // 000000007C28: BF0A4252
	s_cselect_b32 s21, s36, s60                                // 000000007C2C: 85153C24
	s_mov_b64 exec, s[20:21]                                   // 000000007C30: BEFE0114
	buffer_store_dword v89, v6, s[8:11], 0 offen               // 000000007C34: E0701000 80025906
	buffer_store_dword v91, v6, s[8:11], 0 offen offset:128    // 000000007C3C: E0701080 80025B06
	s_mov_b64 exec, s[36:37]                                   // 000000007C44: BEFE0124
	v_mov_b32_e32 v6, v66                                      // 000000007C48: 7E0C0342
	s_mov_b64 s[60:61], 0                                      // 000000007C4C: BEBC0180
	v_readlane_b32 s82, v3, 16                                 // 000000007C50: D2890052 00012103
	s_and_b32 s82, s82, 0xffffff                               // 000000007C58: 8652FF52 00FFFFFF
	s_cmp_lt_u32 s82, s66                                      // 000000007C60: BF0A4252
	s_cselect_b32 s20, s36, s60                                // 000000007C64: 85143C24
	v_readlane_b32 s82, v3, 17                                 // 000000007C68: D2890052 00012303
	s_and_b32 s82, s82, 0xffffff                               // 000000007C70: 8652FF52 00FFFFFF
	s_cmp_lt_u32 s82, s66                                      // 000000007C78: BF0A4252
	s_cselect_b32 s21, s36, s60                                // 000000007C7C: 85153C24
	s_mov_b64 exec, s[20:21]                                   // 000000007C80: BEFE0114
	buffer_store_dword v92, v6, s[8:11], 0 offen               // 000000007C84: E0701000 80025C06
	buffer_store_dword v94, v6, s[8:11], 0 offen offset:128    // 000000007C8C: E0701080 80025E06
	s_mov_b64 exec, s[36:37]                                   // 000000007C94: BEFE0124
	v_mov_b32_e32 v6, v67                                      // 000000007C98: 7E0C0343
	s_mov_b64 s[60:61], 0                                      // 000000007C9C: BEBC0180
	v_readlane_b32 s82, v3, 18                                 // 000000007CA0: D2890052 00012503
	s_and_b32 s82, s82, 0xffffff                               // 000000007CA8: 8652FF52 00FFFFFF
	s_cmp_lt_u32 s82, s66                                      // 000000007CB0: BF0A4252
	s_cselect_b32 s20, s36, s60                                // 000000007CB4: 85143C24
	v_readlane_b32 s82, v3, 19                                 // 000000007CB8: D2890052 00012703
	s_and_b32 s82, s82, 0xffffff                               // 000000007CC0: 8652FF52 00FFFFFF
	s_cmp_lt_u32 s82, s66                                      // 000000007CC8: BF0A4252
	s_cselect_b32 s21, s36, s60                                // 000000007CCC: 85153C24
	s_mov_b64 exec, s[20:21]                                   // 000000007CD0: BEFE0114
	buffer_store_dword v93, v6, s[8:11], 0 offen               // 000000007CD4: E0701000 80025D06
	buffer_store_dword v95, v6, s[8:11], 0 offen offset:128    // 000000007CDC: E0701080 80025F06
	s_mov_b64 exec, s[36:37]                                   // 000000007CE4: BEFE0124
	v_mov_b32_e32 v6, v68                                      // 000000007CE8: 7E0C0344
	s_mov_b64 s[60:61], 0                                      // 000000007CEC: BEBC0180
	v_readlane_b32 s82, v3, 20                                 // 000000007CF0: D2890052 00012903
	s_and_b32 s82, s82, 0xffffff                               // 000000007CF8: 8652FF52 00FFFFFF
	s_cmp_lt_u32 s82, s66                                      // 000000007D00: BF0A4252
	s_cselect_b32 s20, s36, s60                                // 000000007D04: 85143C24
	v_readlane_b32 s82, v3, 21                                 // 000000007D08: D2890052 00012B03
	s_and_b32 s82, s82, 0xffffff                               // 000000007D10: 8652FF52 00FFFFFF
	s_cmp_lt_u32 s82, s66                                      // 000000007D18: BF0A4252
	s_cselect_b32 s21, s36, s60                                // 000000007D1C: 85153C24
	s_mov_b64 exec, s[20:21]                                   // 000000007D20: BEFE0114
	buffer_store_dword v96, v6, s[8:11], 0 offen               // 000000007D24: E0701000 80026006
	buffer_store_dword v98, v6, s[8:11], 0 offen offset:128    // 000000007D2C: E0701080 80026206
	s_mov_b64 exec, s[36:37]                                   // 000000007D34: BEFE0124
	v_mov_b32_e32 v6, v69                                      // 000000007D38: 7E0C0345
	s_mov_b64 s[60:61], 0                                      // 000000007D3C: BEBC0180
	v_readlane_b32 s82, v3, 22                                 // 000000007D40: D2890052 00012D03
	s_and_b32 s82, s82, 0xffffff                               // 000000007D48: 8652FF52 00FFFFFF
	s_cmp_lt_u32 s82, s66                                      // 000000007D50: BF0A4252
	s_cselect_b32 s20, s36, s60                                // 000000007D54: 85143C24
	v_readlane_b32 s82, v3, 23                                 // 000000007D58: D2890052 00012F03
	s_and_b32 s82, s82, 0xffffff                               // 000000007D60: 8652FF52 00FFFFFF
	s_cmp_lt_u32 s82, s66                                      // 000000007D68: BF0A4252
	s_cselect_b32 s21, s36, s60                                // 000000007D6C: 85153C24
	s_mov_b64 exec, s[20:21]                                   // 000000007D70: BEFE0114
	buffer_store_dword v97, v6, s[8:11], 0 offen               // 000000007D74: E0701000 80026106
	buffer_store_dword v99, v6, s[8:11], 0 offen offset:128    // 000000007D7C: E0701080 80026306
	s_mov_b64 exec, s[36:37]                                   // 000000007D84: BEFE0124
	v_mov_b32_e32 v6, v70                                      // 000000007D88: 7E0C0346
	s_mov_b64 s[60:61], 0                                      // 000000007D8C: BEBC0180
	v_readlane_b32 s82, v3, 24                                 // 000000007D90: D2890052 00013103
	s_and_b32 s82, s82, 0xffffff                               // 000000007D98: 8652FF52 00FFFFFF
	s_cmp_lt_u32 s82, s66                                      // 000000007DA0: BF0A4252
	s_cselect_b32 s20, s36, s60                                // 000000007DA4: 85143C24
	v_readlane_b32 s82, v3, 25                                 // 000000007DA8: D2890052 00013303
	s_and_b32 s82, s82, 0xffffff                               // 000000007DB0: 8652FF52 00FFFFFF
	s_cmp_lt_u32 s82, s66                                      // 000000007DB8: BF0A4252
	s_cselect_b32 s21, s36, s60                                // 000000007DBC: 85153C24
	s_mov_b64 exec, s[20:21]                                   // 000000007DC0: BEFE0114
	buffer_store_dword v100, v6, s[8:11], 0 offen              // 000000007DC4: E0701000 80026406
	buffer_store_dword v102, v6, s[8:11], 0 offen offset:128   // 000000007DCC: E0701080 80026606
	s_mov_b64 exec, s[36:37]                                   // 000000007DD4: BEFE0124
	v_mov_b32_e32 v6, v71                                      // 000000007DD8: 7E0C0347
	s_mov_b64 s[60:61], 0                                      // 000000007DDC: BEBC0180
	v_readlane_b32 s82, v3, 26                                 // 000000007DE0: D2890052 00013503
	s_and_b32 s82, s82, 0xffffff                               // 000000007DE8: 8652FF52 00FFFFFF
	s_cmp_lt_u32 s82, s66                                      // 000000007DF0: BF0A4252
	s_cselect_b32 s20, s36, s60                                // 000000007DF4: 85143C24
	v_readlane_b32 s82, v3, 27                                 // 000000007DF8: D2890052 00013703
	s_and_b32 s82, s82, 0xffffff                               // 000000007E00: 8652FF52 00FFFFFF
	s_cmp_lt_u32 s82, s66                                      // 000000007E08: BF0A4252
	s_cselect_b32 s21, s36, s60                                // 000000007E0C: 85153C24
	s_mov_b64 exec, s[20:21]                                   // 000000007E10: BEFE0114
	buffer_store_dword v101, v6, s[8:11], 0 offen              // 000000007E14: E0701000 80026506
	buffer_store_dword v103, v6, s[8:11], 0 offen offset:128   // 000000007E1C: E0701080 80026706
	s_mov_b64 exec, s[36:37]                                   // 000000007E24: BEFE0124
	s_branch label_34E6                                        // 000000007E28: BF821FD8

0000000000007e2c <label_150B>:
	ds_write_b64 v20, v[76:77]                                 // 000000007E2C: D89A0000 00004C14
	ds_write_b64 v20, v[80:81] offset:4352                     // 000000007E34: D89A1100 00005014
	ds_write_b64 v20, v[84:85] offset:8704                     // 000000007E3C: D89A2200 00005414
	ds_write_b64 v20, v[88:89] offset:13056                    // 000000007E44: D89A3300 00005814
	ds_write_b64 v20, v[92:93] offset:17408                    // 000000007E4C: D89A4400 00005C14
	ds_write_b64 v20, v[96:97] offset:21760                    // 000000007E54: D89A5500 00006014
	ds_write_b64 v20, v[100:101] offset:26112                  // 000000007E5C: D89A6600 00006414
	ds_write_b64 v20, v[104:105] offset:2176                   // 000000007E64: D89A0880 00006814
	ds_write_b64 v20, v[108:109] offset:6528                   // 000000007E6C: D89A1980 00006C14
	ds_write_b64 v20, v[112:113] offset:10880                  // 000000007E74: D89A2A80 00007014
	ds_write_b64 v20, v[116:117] offset:15232                  // 000000007E7C: D89A3B80 00007414
	ds_write_b64 v20, v[120:121] offset:19584                  // 000000007E84: D89A4C80 00007814
	ds_write_b64 v20, v[124:125] offset:23936                  // 000000007E8C: D89A5D80 00007C14
	ds_write_b64 v20, v[128:129] offset:28288                  // 000000007E94: D89A6E80 00008014
	v_lshrrev_b32_e32 v4, 5, v0                                // 000000007E9C: 20080085
	v_xor_b32_e32 v5, 1, v4                                    // 000000007EA0: 2A0A0881
	s_mul_i32 s60, s65, 2                                      // 000000007EA4: 923C8241
	s_cmp_eq_u32 s88, 0                                        // 000000007EA8: BF068058
	s_cselect_b32 s61, 1, 4                                    // 000000007EAC: 853D8481
	s_mul_i32 s60, s61, s60                                    // 000000007EB0: 923C3C3D
	v_readlane_b32 s82, v3, 0                                  // 000000007EB4: D2890052 00010103
	s_lshr_b32 s61, s82, 24                                    // 000000007EBC: 8F3D9852
	s_and_b32 s82, s82, 0xffffff                               // 000000007EC0: 8652FF52 00FFFFFF
	s_mul_i32 s82, s82, s71                                    // 000000007EC8: 92524752
	s_mul_i32 s61, s60, s61                                    // 000000007ECC: 923D3D3C
	s_add_u32 s82, s82, s61                                    // 000000007ED0: 80523D52
	v_mul_lo_u32 v6, v5, s82                                   // 000000007ED4: D2850006 0000A505
	v_readlane_b32 s82, v3, 1                                  // 000000007EDC: D2890052 00010303
	s_lshr_b32 s61, s82, 24                                    // 000000007EE4: 8F3D9852
	s_and_b32 s82, s82, 0xffffff                               // 000000007EE8: 8652FF52 00FFFFFF
	s_mul_i32 s82, s82, s71                                    // 000000007EF0: 92524752
	s_mul_i32 s61, s60, s61                                    // 000000007EF4: 923D3D3C
	s_add_u32 s82, s82, s61                                    // 000000007EF8: 80523D52
	v_mul_lo_u32 v7, v4, s82                                   // 000000007EFC: D2850007 0000A504
	v_add_u32_e32 v58, v6, v7                                  // 000000007F04: 68740F06
	v_readlane_b32 s82, v3, 2                                  // 000000007F08: D2890052 00010503
	s_lshr_b32 s61, s82, 24                                    // 000000007F10: 8F3D9852
	s_and_b32 s82, s82, 0xffffff                               // 000000007F14: 8652FF52 00FFFFFF
	s_mul_i32 s82, s82, s71                                    // 000000007F1C: 92524752
	s_mul_i32 s61, s60, s61                                    // 000000007F20: 923D3D3C
	s_add_u32 s82, s82, s61                                    // 000000007F24: 80523D52
	v_mul_lo_u32 v6, v5, s82                                   // 000000007F28: D2850006 0000A505
	v_readlane_b32 s82, v3, 3                                  // 000000007F30: D2890052 00010703
	s_lshr_b32 s61, s82, 24                                    // 000000007F38: 8F3D9852
	s_and_b32 s82, s82, 0xffffff                               // 000000007F3C: 8652FF52 00FFFFFF
	s_mul_i32 s82, s82, s71                                    // 000000007F44: 92524752
	s_mul_i32 s61, s60, s61                                    // 000000007F48: 923D3D3C
	s_add_u32 s82, s82, s61                                    // 000000007F4C: 80523D52
	v_mul_lo_u32 v7, v4, s82                                   // 000000007F50: D2850007 0000A504
	v_add_u32_e32 v59, v6, v7                                  // 000000007F58: 68760F06
	v_readlane_b32 s82, v3, 4                                  // 000000007F5C: D2890052 00010903
	s_lshr_b32 s61, s82, 24                                    // 000000007F64: 8F3D9852
	s_and_b32 s82, s82, 0xffffff                               // 000000007F68: 8652FF52 00FFFFFF
	s_mul_i32 s82, s82, s71                                    // 000000007F70: 92524752
	s_mul_i32 s61, s60, s61                                    // 000000007F74: 923D3D3C
	s_add_u32 s82, s82, s61                                    // 000000007F78: 80523D52
	v_mul_lo_u32 v6, v5, s82                                   // 000000007F7C: D2850006 0000A505
	v_readlane_b32 s82, v3, 5                                  // 000000007F84: D2890052 00010B03
	s_lshr_b32 s61, s82, 24                                    // 000000007F8C: 8F3D9852
	s_and_b32 s82, s82, 0xffffff                               // 000000007F90: 8652FF52 00FFFFFF
	s_mul_i32 s82, s82, s71                                    // 000000007F98: 92524752
	s_mul_i32 s61, s60, s61                                    // 000000007F9C: 923D3D3C
	s_add_u32 s82, s82, s61                                    // 000000007FA0: 80523D52
	v_mul_lo_u32 v7, v4, s82                                   // 000000007FA4: D2850007 0000A504
	v_add_u32_e32 v60, v6, v7                                  // 000000007FAC: 68780F06
	v_readlane_b32 s82, v3, 6                                  // 000000007FB0: D2890052 00010D03
	s_lshr_b32 s61, s82, 24                                    // 000000007FB8: 8F3D9852
	s_and_b32 s82, s82, 0xffffff                               // 000000007FBC: 8652FF52 00FFFFFF
	s_mul_i32 s82, s82, s71                                    // 000000007FC4: 92524752
	s_mul_i32 s61, s60, s61                                    // 000000007FC8: 923D3D3C
	s_add_u32 s82, s82, s61                                    // 000000007FCC: 80523D52
	v_mul_lo_u32 v6, v5, s82                                   // 000000007FD0: D2850006 0000A505
	v_readlane_b32 s82, v3, 7                                  // 000000007FD8: D2890052 00010F03
	s_lshr_b32 s61, s82, 24                                    // 000000007FE0: 8F3D9852
	s_and_b32 s82, s82, 0xffffff                               // 000000007FE4: 8652FF52 00FFFFFF
	s_mul_i32 s82, s82, s71                                    // 000000007FEC: 92524752
	s_mul_i32 s61, s60, s61                                    // 000000007FF0: 923D3D3C
	s_add_u32 s82, s82, s61                                    // 000000007FF4: 80523D52
	v_mul_lo_u32 v7, v4, s82                                   // 000000007FF8: D2850007 0000A504
	v_add_u32_e32 v61, v6, v7                                  // 000000008000: 687A0F06
	v_readlane_b32 s82, v3, 8                                  // 000000008004: D2890052 00011103
	s_lshr_b32 s61, s82, 24                                    // 00000000800C: 8F3D9852
	s_and_b32 s82, s82, 0xffffff                               // 000000008010: 8652FF52 00FFFFFF
	s_mul_i32 s82, s82, s71                                    // 000000008018: 92524752
	s_mul_i32 s61, s60, s61                                    // 00000000801C: 923D3D3C
	s_add_u32 s82, s82, s61                                    // 000000008020: 80523D52
	v_mul_lo_u32 v6, v5, s82                                   // 000000008024: D2850006 0000A505
	v_readlane_b32 s82, v3, 9                                  // 00000000802C: D2890052 00011303
	s_lshr_b32 s61, s82, 24                                    // 000000008034: 8F3D9852
	s_and_b32 s82, s82, 0xffffff                               // 000000008038: 8652FF52 00FFFFFF
	s_mul_i32 s82, s82, s71                                    // 000000008040: 92524752
	s_mul_i32 s61, s60, s61                                    // 000000008044: 923D3D3C
	s_add_u32 s82, s82, s61                                    // 000000008048: 80523D52
	v_mul_lo_u32 v7, v4, s82                                   // 00000000804C: D2850007 0000A504
	v_add_u32_e32 v62, v6, v7                                  // 000000008054: 687C0F06
	v_readlane_b32 s82, v3, 10                                 // 000000008058: D2890052 00011503
	s_lshr_b32 s61, s82, 24                                    // 000000008060: 8F3D9852
	s_and_b32 s82, s82, 0xffffff                               // 000000008064: 8652FF52 00FFFFFF
	s_mul_i32 s82, s82, s71                                    // 00000000806C: 92524752
	s_mul_i32 s61, s60, s61                                    // 000000008070: 923D3D3C
	s_add_u32 s82, s82, s61                                    // 000000008074: 80523D52
	v_mul_lo_u32 v6, v5, s82                                   // 000000008078: D2850006 0000A505
	v_readlane_b32 s82, v3, 11                                 // 000000008080: D2890052 00011703
	s_lshr_b32 s61, s82, 24                                    // 000000008088: 8F3D9852
	s_and_b32 s82, s82, 0xffffff                               // 00000000808C: 8652FF52 00FFFFFF
	s_mul_i32 s82, s82, s71                                    // 000000008094: 92524752
	s_mul_i32 s61, s60, s61                                    // 000000008098: 923D3D3C
	s_add_u32 s82, s82, s61                                    // 00000000809C: 80523D52
	v_mul_lo_u32 v7, v4, s82                                   // 0000000080A0: D2850007 0000A504
	v_add_u32_e32 v63, v6, v7                                  // 0000000080A8: 687E0F06
	v_readlane_b32 s82, v3, 12                                 // 0000000080AC: D2890052 00011903
	s_lshr_b32 s61, s82, 24                                    // 0000000080B4: 8F3D9852
	s_and_b32 s82, s82, 0xffffff                               // 0000000080B8: 8652FF52 00FFFFFF
	s_mul_i32 s82, s82, s71                                    // 0000000080C0: 92524752
	s_mul_i32 s61, s60, s61                                    // 0000000080C4: 923D3D3C
	s_add_u32 s82, s82, s61                                    // 0000000080C8: 80523D52
	v_mul_lo_u32 v6, v5, s82                                   // 0000000080CC: D2850006 0000A505
	v_readlane_b32 s82, v3, 13                                 // 0000000080D4: D2890052 00011B03
	s_lshr_b32 s61, s82, 24                                    // 0000000080DC: 8F3D9852
	s_and_b32 s82, s82, 0xffffff                               // 0000000080E0: 8652FF52 00FFFFFF
	s_mul_i32 s82, s82, s71                                    // 0000000080E8: 92524752
	s_mul_i32 s61, s60, s61                                    // 0000000080EC: 923D3D3C
	s_add_u32 s82, s82, s61                                    // 0000000080F0: 80523D52
	v_mul_lo_u32 v7, v4, s82                                   // 0000000080F4: D2850007 0000A504
	v_add_u32_e32 v64, v6, v7                                  // 0000000080FC: 68800F06
	v_readlane_b32 s82, v3, 14                                 // 000000008100: D2890052 00011D03
	s_lshr_b32 s61, s82, 24                                    // 000000008108: 8F3D9852
	s_and_b32 s82, s82, 0xffffff                               // 00000000810C: 8652FF52 00FFFFFF
	s_mul_i32 s82, s82, s71                                    // 000000008114: 92524752
	s_mul_i32 s61, s60, s61                                    // 000000008118: 923D3D3C
	s_add_u32 s82, s82, s61                                    // 00000000811C: 80523D52
	v_mul_lo_u32 v6, v5, s82                                   // 000000008120: D2850006 0000A505
	v_readlane_b32 s82, v3, 15                                 // 000000008128: D2890052 00011F03
	s_lshr_b32 s61, s82, 24                                    // 000000008130: 8F3D9852
	s_and_b32 s82, s82, 0xffffff                               // 000000008134: 8652FF52 00FFFFFF
	s_mul_i32 s82, s82, s71                                    // 00000000813C: 92524752
	s_mul_i32 s61, s60, s61                                    // 000000008140: 923D3D3C
	s_add_u32 s82, s82, s61                                    // 000000008144: 80523D52
	v_mul_lo_u32 v7, v4, s82                                   // 000000008148: D2850007 0000A504
	v_add_u32_e32 v65, v6, v7                                  // 000000008150: 68820F06
	v_readlane_b32 s82, v3, 16                                 // 000000008154: D2890052 00012103
	s_lshr_b32 s61, s82, 24                                    // 00000000815C: 8F3D9852
	s_and_b32 s82, s82, 0xffffff                               // 000000008160: 8652FF52 00FFFFFF
	s_mul_i32 s82, s82, s71                                    // 000000008168: 92524752
	s_mul_i32 s61, s60, s61                                    // 00000000816C: 923D3D3C
	s_add_u32 s82, s82, s61                                    // 000000008170: 80523D52
	v_mul_lo_u32 v6, v5, s82                                   // 000000008174: D2850006 0000A505
	v_readlane_b32 s82, v3, 17                                 // 00000000817C: D2890052 00012303
	s_lshr_b32 s61, s82, 24                                    // 000000008184: 8F3D9852
	s_and_b32 s82, s82, 0xffffff                               // 000000008188: 8652FF52 00FFFFFF
	s_mul_i32 s82, s82, s71                                    // 000000008190: 92524752
	s_mul_i32 s61, s60, s61                                    // 000000008194: 923D3D3C
	s_add_u32 s82, s82, s61                                    // 000000008198: 80523D52
	v_mul_lo_u32 v7, v4, s82                                   // 00000000819C: D2850007 0000A504
	v_add_u32_e32 v66, v6, v7                                  // 0000000081A4: 68840F06
	v_readlane_b32 s82, v3, 18                                 // 0000000081A8: D2890052 00012503
	s_lshr_b32 s61, s82, 24                                    // 0000000081B0: 8F3D9852
	s_and_b32 s82, s82, 0xffffff                               // 0000000081B4: 8652FF52 00FFFFFF
	s_mul_i32 s82, s82, s71                                    // 0000000081BC: 92524752
	s_mul_i32 s61, s60, s61                                    // 0000000081C0: 923D3D3C
	s_add_u32 s82, s82, s61                                    // 0000000081C4: 80523D52
	v_mul_lo_u32 v6, v5, s82                                   // 0000000081C8: D2850006 0000A505
	v_readlane_b32 s82, v3, 19                                 // 0000000081D0: D2890052 00012703
	s_lshr_b32 s61, s82, 24                                    // 0000000081D8: 8F3D9852
	s_and_b32 s82, s82, 0xffffff                               // 0000000081DC: 8652FF52 00FFFFFF
	s_mul_i32 s82, s82, s71                                    // 0000000081E4: 92524752
	s_mul_i32 s61, s60, s61                                    // 0000000081E8: 923D3D3C
	s_add_u32 s82, s82, s61                                    // 0000000081EC: 80523D52
	v_mul_lo_u32 v7, v4, s82                                   // 0000000081F0: D2850007 0000A504
	v_add_u32_e32 v67, v6, v7                                  // 0000000081F8: 68860F06
	v_readlane_b32 s82, v3, 20                                 // 0000000081FC: D2890052 00012903
	s_lshr_b32 s61, s82, 24                                    // 000000008204: 8F3D9852
	s_and_b32 s82, s82, 0xffffff                               // 000000008208: 8652FF52 00FFFFFF
	s_mul_i32 s82, s82, s71                                    // 000000008210: 92524752
	s_mul_i32 s61, s60, s61                                    // 000000008214: 923D3D3C
	s_add_u32 s82, s82, s61                                    // 000000008218: 80523D52
	v_mul_lo_u32 v6, v5, s82                                   // 00000000821C: D2850006 0000A505
	v_readlane_b32 s82, v3, 21                                 // 000000008224: D2890052 00012B03
	s_lshr_b32 s61, s82, 24                                    // 00000000822C: 8F3D9852
	s_and_b32 s82, s82, 0xffffff                               // 000000008230: 8652FF52 00FFFFFF
	s_mul_i32 s82, s82, s71                                    // 000000008238: 92524752
	s_mul_i32 s61, s60, s61                                    // 00000000823C: 923D3D3C
	s_add_u32 s82, s82, s61                                    // 000000008240: 80523D52
	v_mul_lo_u32 v7, v4, s82                                   // 000000008244: D2850007 0000A504
	v_add_u32_e32 v68, v6, v7                                  // 00000000824C: 68880F06
	v_readlane_b32 s82, v3, 22                                 // 000000008250: D2890052 00012D03
	s_lshr_b32 s61, s82, 24                                    // 000000008258: 8F3D9852
	s_and_b32 s82, s82, 0xffffff                               // 00000000825C: 8652FF52 00FFFFFF
	s_mul_i32 s82, s82, s71                                    // 000000008264: 92524752
	s_mul_i32 s61, s60, s61                                    // 000000008268: 923D3D3C
	s_add_u32 s82, s82, s61                                    // 00000000826C: 80523D52
	v_mul_lo_u32 v6, v5, s82                                   // 000000008270: D2850006 0000A505
	v_readlane_b32 s82, v3, 23                                 // 000000008278: D2890052 00012F03
	s_lshr_b32 s61, s82, 24                                    // 000000008280: 8F3D9852
	s_and_b32 s82, s82, 0xffffff                               // 000000008284: 8652FF52 00FFFFFF
	s_mul_i32 s82, s82, s71                                    // 00000000828C: 92524752
	s_mul_i32 s61, s60, s61                                    // 000000008290: 923D3D3C
	s_add_u32 s82, s82, s61                                    // 000000008294: 80523D52
	v_mul_lo_u32 v7, v4, s82                                   // 000000008298: D2850007 0000A504
	v_add_u32_e32 v69, v6, v7                                  // 0000000082A0: 688A0F06
	v_readlane_b32 s82, v3, 24                                 // 0000000082A4: D2890052 00013103
	s_lshr_b32 s61, s82, 24                                    // 0000000082AC: 8F3D9852
	s_and_b32 s82, s82, 0xffffff                               // 0000000082B0: 8652FF52 00FFFFFF
	s_mul_i32 s82, s82, s71                                    // 0000000082B8: 92524752
	s_mul_i32 s61, s60, s61                                    // 0000000082BC: 923D3D3C
	s_add_u32 s82, s82, s61                                    // 0000000082C0: 80523D52
	v_mul_lo_u32 v6, v5, s82                                   // 0000000082C4: D2850006 0000A505
	v_readlane_b32 s82, v3, 25                                 // 0000000082CC: D2890052 00013303
	s_lshr_b32 s61, s82, 24                                    // 0000000082D4: 8F3D9852
	s_and_b32 s82, s82, 0xffffff                               // 0000000082D8: 8652FF52 00FFFFFF
	s_mul_i32 s82, s82, s71                                    // 0000000082E0: 92524752
	s_mul_i32 s61, s60, s61                                    // 0000000082E4: 923D3D3C
	s_add_u32 s82, s82, s61                                    // 0000000082E8: 80523D52
	v_mul_lo_u32 v7, v4, s82                                   // 0000000082EC: D2850007 0000A504
	v_add_u32_e32 v70, v6, v7                                  // 0000000082F4: 688C0F06
	v_readlane_b32 s82, v3, 26                                 // 0000000082F8: D2890052 00013503
	s_lshr_b32 s61, s82, 24                                    // 000000008300: 8F3D9852
	s_and_b32 s82, s82, 0xffffff                               // 000000008304: 8652FF52 00FFFFFF
	s_mul_i32 s82, s82, s71                                    // 00000000830C: 92524752
	s_mul_i32 s61, s60, s61                                    // 000000008310: 923D3D3C
	s_add_u32 s82, s82, s61                                    // 000000008314: 80523D52
	v_mul_lo_u32 v6, v5, s82                                   // 000000008318: D2850006 0000A505
	v_readlane_b32 s82, v3, 27                                 // 000000008320: D2890052 00013703
	s_lshr_b32 s61, s82, 24                                    // 000000008328: 8F3D9852
	s_and_b32 s82, s82, 0xffffff                               // 00000000832C: 8652FF52 00FFFFFF
	s_mul_i32 s82, s82, s71                                    // 000000008334: 92524752
	s_mul_i32 s61, s60, s61                                    // 000000008338: 923D3D3C
	s_add_u32 s82, s82, s61                                    // 00000000833C: 80523D52
	v_mul_lo_u32 v7, v4, s82                                   // 000000008340: D2850007 0000A504
	v_add_u32_e32 v71, v6, v7                                  // 000000008348: 688E0F06
	v_and_b32_e32 v4, 31, v0                                   // 00000000834C: 2608009F
	v_lshrrev_b32_e32 v4, 1, v4                                // 000000008350: 20080881
	s_cmp_eq_u32 s88, 0                                        // 000000008354: BF068058
	s_cselect_b32 s61, 2, 4                                    // 000000008358: 853D8482
	v_mul_lo_u32 v4, v4, s61                                   // 00000000835C: D2850004 00007B04
	v_and_b32_e64 v5, v0, 1                                    // 000000008364: D1130005 00010300
	v_add_u32_e32 v4, v4, v5                                   // 00000000836C: 68080B04
	v_lshlrev_b32_e32 v4, 2, v4                                // 000000008370: 24080882
	v_add_u32_e32 v58, v58, v4                                 // 000000008374: 6874093A
	v_add_u32_e32 v59, v59, v4                                 // 000000008378: 6876093B
	v_add_u32_e32 v60, v60, v4                                 // 00000000837C: 6878093C
	v_add_u32_e32 v61, v61, v4                                 // 000000008380: 687A093D
	v_add_u32_e32 v62, v62, v4                                 // 000000008384: 687C093E
	v_add_u32_e32 v63, v63, v4                                 // 000000008388: 687E093F
	v_add_u32_e32 v64, v64, v4                                 // 00000000838C: 68800940
	v_add_u32_e32 v65, v65, v4                                 // 000000008390: 68820941
	v_add_u32_e32 v66, v66, v4                                 // 000000008394: 68840942
	;; [unrolled: 1-line block ×3, first 2 shown]
	v_add_u32_e32 v68, v68, v4                                 // 00000000839C: 68880944
	v_add_u32_e32 v69, v69, v4                                 // 0000000083A0: 688A0945
	v_add_u32_e32 v70, v70, v4                                 // 0000000083A4: 688C0946
	v_add_u32_e32 v71, v71, v4                                 // 0000000083A8: 688E0947
	s_waitcnt lgkmcnt(0)                                       // 0000000083AC: BF8CC07F
	s_barrier                                                  // 0000000083B0: BF8A0000
	ds_read_b32 v76, v21                                       // 0000000083B4: D86C0000 4C000015
	ds_read_b32 v77, v21 offset:64                             // 0000000083BC: D86C0040 4D000015
	ds_read_b32 v80, v21 offset:2176                           // 0000000083C4: D86C0880 50000015
	ds_read_b32 v81, v21 offset:2240                           // 0000000083CC: D86C08C0 51000015
	ds_read_b32 v84, v21 offset:4352                           // 0000000083D4: D86C1100 54000015
	ds_read_b32 v85, v21 offset:4416                           // 0000000083DC: D86C1140 55000015
	ds_read_b32 v88, v21 offset:6528                           // 0000000083E4: D86C1980 58000015
	ds_read_b32 v89, v21 offset:6592                           // 0000000083EC: D86C19C0 59000015
	ds_read_b32 v92, v21 offset:8704                           // 0000000083F4: D86C2200 5C000015
	ds_read_b32 v93, v21 offset:8768                           // 0000000083FC: D86C2240 5D000015
	ds_read_b32 v96, v21 offset:10880                          // 000000008404: D86C2A80 60000015
	ds_read_b32 v97, v21 offset:10944                          // 00000000840C: D86C2AC0 61000015
	ds_read_b32 v100, v21 offset:13056                         // 000000008414: D86C3300 64000015
	ds_read_b32 v101, v21 offset:13120                         // 00000000841C: D86C3340 65000015
	ds_read_b32 v104, v21 offset:15232                         // 000000008424: D86C3B80 68000015
	ds_read_b32 v105, v21 offset:15296                         // 00000000842C: D86C3BC0 69000015
	ds_read_b32 v108, v21 offset:17408                         // 000000008434: D86C4400 6C000015
	ds_read_b32 v109, v21 offset:17472                         // 00000000843C: D86C4440 6D000015
	ds_read_b32 v112, v21 offset:19584                         // 000000008444: D86C4C80 70000015
	ds_read_b32 v113, v21 offset:19648                         // 00000000844C: D86C4CC0 71000015
	ds_read_b32 v116, v21 offset:21760                         // 000000008454: D86C5500 74000015
	ds_read_b32 v117, v21 offset:21824                         // 00000000845C: D86C5540 75000015
	ds_read_b32 v120, v21 offset:23936                         // 000000008464: D86C5D80 78000015
	ds_read_b32 v121, v21 offset:24000                         // 00000000846C: D86C5DC0 79000015
	ds_read_b32 v124, v21 offset:26112                         // 000000008474: D86C6600 7C000015
	ds_read_b32 v125, v21 offset:26176                         // 00000000847C: D86C6640 7D000015
	ds_read_b32 v128, v21 offset:28288                         // 000000008484: D86C6E80 80000015
	ds_read_b32 v129, v21 offset:28352                         // 00000000848C: D86C6EC0 81000015
	s_waitcnt lgkmcnt(0)                                       // 000000008494: BF8CC07F
	s_mov_b32 s36, -1                                          // 000000008498: BEA400C1
	s_mov_b32 s37, -1                                          // 00000000849C: BEA500C1
	v_mov_b32_e32 v7, 0                                        // 0000000084A0: 7E0E0280
	s_mov_b64 exec, s[36:37]                                   // 0000000084A4: BEFE0124
	v_mov_b32_e32 v6, v58                                      // 0000000084A8: 7E0C033A
	s_mov_b64 s[60:61], 0                                      // 0000000084AC: BEBC0180
	v_readlane_b32 s82, v3, 0                                  // 0000000084B0: D2890052 00010103
	s_and_b32 s82, s82, 0xffffff                               // 0000000084B8: 8652FF52 00FFFFFF
	s_cmp_lt_u32 s82, s66                                      // 0000000084C0: BF0A4252
	s_cselect_b32 s20, s36, s60                                // 0000000084C4: 85143C24
	v_readlane_b32 s82, v3, 1                                  // 0000000084C8: D2890052 00010303
	s_and_b32 s82, s82, 0xffffff                               // 0000000084D0: 8652FF52 00FFFFFF
	s_cmp_lt_u32 s82, s66                                      // 0000000084D8: BF0A4252
	s_cselect_b32 s21, s36, s60                                // 0000000084DC: 85153C24
	s_mov_b64 exec, s[20:21]                                   // 0000000084E0: BEFE0114
	global_atomic_add_f32 v6, v76, s[8:9]                      // 0000000084E4: DD348000 00084C06
	global_atomic_add_f32 v6, v80, s[8:9] offset:256           // 0000000084EC: DD348100 00085006
	s_mov_b64 exec, s[36:37]                                   // 0000000084F4: BEFE0124
	v_mov_b32_e32 v6, v59                                      // 0000000084F8: 7E0C033B
	s_mov_b64 s[60:61], 0                                      // 0000000084FC: BEBC0180
	v_readlane_b32 s82, v3, 2                                  // 000000008500: D2890052 00010503
	s_and_b32 s82, s82, 0xffffff                               // 000000008508: 8652FF52 00FFFFFF
	s_cmp_lt_u32 s82, s66                                      // 000000008510: BF0A4252
	s_cselect_b32 s20, s36, s60                                // 000000008514: 85143C24
	v_readlane_b32 s82, v3, 3                                  // 000000008518: D2890052 00010703
	s_and_b32 s82, s82, 0xffffff                               // 000000008520: 8652FF52 00FFFFFF
	s_cmp_lt_u32 s82, s66                                      // 000000008528: BF0A4252
	s_cselect_b32 s21, s36, s60                                // 00000000852C: 85153C24
	s_mov_b64 exec, s[20:21]                                   // 000000008530: BEFE0114
	global_atomic_add_f32 v6, v77, s[8:9]                      // 000000008534: DD348000 00084D06
	global_atomic_add_f32 v6, v81, s[8:9] offset:256           // 00000000853C: DD348100 00085106
	s_mov_b64 exec, s[36:37]                                   // 000000008544: BEFE0124
	v_mov_b32_e32 v6, v60                                      // 000000008548: 7E0C033C
	s_mov_b64 s[60:61], 0                                      // 00000000854C: BEBC0180
	v_readlane_b32 s82, v3, 4                                  // 000000008550: D2890052 00010903
	s_and_b32 s82, s82, 0xffffff                               // 000000008558: 8652FF52 00FFFFFF
	s_cmp_lt_u32 s82, s66                                      // 000000008560: BF0A4252
	s_cselect_b32 s20, s36, s60                                // 000000008564: 85143C24
	v_readlane_b32 s82, v3, 5                                  // 000000008568: D2890052 00010B03
	s_and_b32 s82, s82, 0xffffff                               // 000000008570: 8652FF52 00FFFFFF
	s_cmp_lt_u32 s82, s66                                      // 000000008578: BF0A4252
	s_cselect_b32 s21, s36, s60                                // 00000000857C: 85153C24
	s_mov_b64 exec, s[20:21]                                   // 000000008580: BEFE0114
	global_atomic_add_f32 v6, v84, s[8:9]                      // 000000008584: DD348000 00085406
	global_atomic_add_f32 v6, v88, s[8:9] offset:256           // 00000000858C: DD348100 00085806
	s_mov_b64 exec, s[36:37]                                   // 000000008594: BEFE0124
	v_mov_b32_e32 v6, v61                                      // 000000008598: 7E0C033D
	s_mov_b64 s[60:61], 0                                      // 00000000859C: BEBC0180
	v_readlane_b32 s82, v3, 6                                  // 0000000085A0: D2890052 00010D03
	s_and_b32 s82, s82, 0xffffff                               // 0000000085A8: 8652FF52 00FFFFFF
	s_cmp_lt_u32 s82, s66                                      // 0000000085B0: BF0A4252
	s_cselect_b32 s20, s36, s60                                // 0000000085B4: 85143C24
	v_readlane_b32 s82, v3, 7                                  // 0000000085B8: D2890052 00010F03
	s_and_b32 s82, s82, 0xffffff                               // 0000000085C0: 8652FF52 00FFFFFF
	s_cmp_lt_u32 s82, s66                                      // 0000000085C8: BF0A4252
	s_cselect_b32 s21, s36, s60                                // 0000000085CC: 85153C24
	s_mov_b64 exec, s[20:21]                                   // 0000000085D0: BEFE0114
	global_atomic_add_f32 v6, v85, s[8:9]                      // 0000000085D4: DD348000 00085506
	global_atomic_add_f32 v6, v89, s[8:9] offset:256           // 0000000085DC: DD348100 00085906
	s_mov_b64 exec, s[36:37]                                   // 0000000085E4: BEFE0124
	v_mov_b32_e32 v6, v62                                      // 0000000085E8: 7E0C033E
	s_mov_b64 s[60:61], 0                                      // 0000000085EC: BEBC0180
	v_readlane_b32 s82, v3, 8                                  // 0000000085F0: D2890052 00011103
	s_and_b32 s82, s82, 0xffffff                               // 0000000085F8: 8652FF52 00FFFFFF
	s_cmp_lt_u32 s82, s66                                      // 000000008600: BF0A4252
	s_cselect_b32 s20, s36, s60                                // 000000008604: 85143C24
	v_readlane_b32 s82, v3, 9                                  // 000000008608: D2890052 00011303
	s_and_b32 s82, s82, 0xffffff                               // 000000008610: 8652FF52 00FFFFFF
	s_cmp_lt_u32 s82, s66                                      // 000000008618: BF0A4252
	s_cselect_b32 s21, s36, s60                                // 00000000861C: 85153C24
	s_mov_b64 exec, s[20:21]                                   // 000000008620: BEFE0114
	global_atomic_add_f32 v6, v92, s[8:9]                      // 000000008624: DD348000 00085C06
	global_atomic_add_f32 v6, v96, s[8:9] offset:256           // 00000000862C: DD348100 00086006
	s_mov_b64 exec, s[36:37]                                   // 000000008634: BEFE0124
	v_mov_b32_e32 v6, v63                                      // 000000008638: 7E0C033F
	s_mov_b64 s[60:61], 0                                      // 00000000863C: BEBC0180
	v_readlane_b32 s82, v3, 10                                 // 000000008640: D2890052 00011503
	s_and_b32 s82, s82, 0xffffff                               // 000000008648: 8652FF52 00FFFFFF
	s_cmp_lt_u32 s82, s66                                      // 000000008650: BF0A4252
	s_cselect_b32 s20, s36, s60                                // 000000008654: 85143C24
	v_readlane_b32 s82, v3, 11                                 // 000000008658: D2890052 00011703
	s_and_b32 s82, s82, 0xffffff                               // 000000008660: 8652FF52 00FFFFFF
	s_cmp_lt_u32 s82, s66                                      // 000000008668: BF0A4252
	s_cselect_b32 s21, s36, s60                                // 00000000866C: 85153C24
	s_mov_b64 exec, s[20:21]                                   // 000000008670: BEFE0114
	global_atomic_add_f32 v6, v93, s[8:9]                      // 000000008674: DD348000 00085D06
	global_atomic_add_f32 v6, v97, s[8:9] offset:256           // 00000000867C: DD348100 00086106
	s_mov_b64 exec, s[36:37]                                   // 000000008684: BEFE0124
	v_mov_b32_e32 v6, v64                                      // 000000008688: 7E0C0340
	s_mov_b64 s[60:61], 0                                      // 00000000868C: BEBC0180
	v_readlane_b32 s82, v3, 12                                 // 000000008690: D2890052 00011903
	s_and_b32 s82, s82, 0xffffff                               // 000000008698: 8652FF52 00FFFFFF
	s_cmp_lt_u32 s82, s66                                      // 0000000086A0: BF0A4252
	s_cselect_b32 s20, s36, s60                                // 0000000086A4: 85143C24
	v_readlane_b32 s82, v3, 13                                 // 0000000086A8: D2890052 00011B03
	s_and_b32 s82, s82, 0xffffff                               // 0000000086B0: 8652FF52 00FFFFFF
	s_cmp_lt_u32 s82, s66                                      // 0000000086B8: BF0A4252
	s_cselect_b32 s21, s36, s60                                // 0000000086BC: 85153C24
	s_mov_b64 exec, s[20:21]                                   // 0000000086C0: BEFE0114
	global_atomic_add_f32 v6, v100, s[8:9]                     // 0000000086C4: DD348000 00086406
	global_atomic_add_f32 v6, v104, s[8:9] offset:256          // 0000000086CC: DD348100 00086806
	s_mov_b64 exec, s[36:37]                                   // 0000000086D4: BEFE0124
	v_mov_b32_e32 v6, v65                                      // 0000000086D8: 7E0C0341
	s_mov_b64 s[60:61], 0                                      // 0000000086DC: BEBC0180
	v_readlane_b32 s82, v3, 14                                 // 0000000086E0: D2890052 00011D03
	s_and_b32 s82, s82, 0xffffff                               // 0000000086E8: 8652FF52 00FFFFFF
	s_cmp_lt_u32 s82, s66                                      // 0000000086F0: BF0A4252
	s_cselect_b32 s20, s36, s60                                // 0000000086F4: 85143C24
	v_readlane_b32 s82, v3, 15                                 // 0000000086F8: D2890052 00011F03
	s_and_b32 s82, s82, 0xffffff                               // 000000008700: 8652FF52 00FFFFFF
	s_cmp_lt_u32 s82, s66                                      // 000000008708: BF0A4252
	s_cselect_b32 s21, s36, s60                                // 00000000870C: 85153C24
	s_mov_b64 exec, s[20:21]                                   // 000000008710: BEFE0114
	global_atomic_add_f32 v6, v101, s[8:9]                     // 000000008714: DD348000 00086506
	global_atomic_add_f32 v6, v105, s[8:9] offset:256          // 00000000871C: DD348100 00086906
	s_mov_b64 exec, s[36:37]                                   // 000000008724: BEFE0124
	v_mov_b32_e32 v6, v66                                      // 000000008728: 7E0C0342
	s_mov_b64 s[60:61], 0                                      // 00000000872C: BEBC0180
	v_readlane_b32 s82, v3, 16                                 // 000000008730: D2890052 00012103
	s_and_b32 s82, s82, 0xffffff                               // 000000008738: 8652FF52 00FFFFFF
	s_cmp_lt_u32 s82, s66                                      // 000000008740: BF0A4252
	s_cselect_b32 s20, s36, s60                                // 000000008744: 85143C24
	v_readlane_b32 s82, v3, 17                                 // 000000008748: D2890052 00012303
	s_and_b32 s82, s82, 0xffffff                               // 000000008750: 8652FF52 00FFFFFF
	s_cmp_lt_u32 s82, s66                                      // 000000008758: BF0A4252
	s_cselect_b32 s21, s36, s60                                // 00000000875C: 85153C24
	s_mov_b64 exec, s[20:21]                                   // 000000008760: BEFE0114
	global_atomic_add_f32 v6, v108, s[8:9]                     // 000000008764: DD348000 00086C06
	global_atomic_add_f32 v6, v112, s[8:9] offset:256          // 00000000876C: DD348100 00087006
	s_mov_b64 exec, s[36:37]                                   // 000000008774: BEFE0124
	v_mov_b32_e32 v6, v67                                      // 000000008778: 7E0C0343
	s_mov_b64 s[60:61], 0                                      // 00000000877C: BEBC0180
	v_readlane_b32 s82, v3, 18                                 // 000000008780: D2890052 00012503
	s_and_b32 s82, s82, 0xffffff                               // 000000008788: 8652FF52 00FFFFFF
	s_cmp_lt_u32 s82, s66                                      // 000000008790: BF0A4252
	s_cselect_b32 s20, s36, s60                                // 000000008794: 85143C24
	v_readlane_b32 s82, v3, 19                                 // 000000008798: D2890052 00012703
	s_and_b32 s82, s82, 0xffffff                               // 0000000087A0: 8652FF52 00FFFFFF
	s_cmp_lt_u32 s82, s66                                      // 0000000087A8: BF0A4252
	s_cselect_b32 s21, s36, s60                                // 0000000087AC: 85153C24
	s_mov_b64 exec, s[20:21]                                   // 0000000087B0: BEFE0114
	global_atomic_add_f32 v6, v109, s[8:9]                     // 0000000087B4: DD348000 00086D06
	global_atomic_add_f32 v6, v113, s[8:9] offset:256          // 0000000087BC: DD348100 00087106
	s_mov_b64 exec, s[36:37]                                   // 0000000087C4: BEFE0124
	v_mov_b32_e32 v6, v68                                      // 0000000087C8: 7E0C0344
	s_mov_b64 s[60:61], 0                                      // 0000000087CC: BEBC0180
	v_readlane_b32 s82, v3, 20                                 // 0000000087D0: D2890052 00012903
	s_and_b32 s82, s82, 0xffffff                               // 0000000087D8: 8652FF52 00FFFFFF
	s_cmp_lt_u32 s82, s66                                      // 0000000087E0: BF0A4252
	s_cselect_b32 s20, s36, s60                                // 0000000087E4: 85143C24
	v_readlane_b32 s82, v3, 21                                 // 0000000087E8: D2890052 00012B03
	s_and_b32 s82, s82, 0xffffff                               // 0000000087F0: 8652FF52 00FFFFFF
	s_cmp_lt_u32 s82, s66                                      // 0000000087F8: BF0A4252
	s_cselect_b32 s21, s36, s60                                // 0000000087FC: 85153C24
	s_mov_b64 exec, s[20:21]                                   // 000000008800: BEFE0114
	global_atomic_add_f32 v6, v116, s[8:9]                     // 000000008804: DD348000 00087406
	global_atomic_add_f32 v6, v120, s[8:9] offset:256          // 00000000880C: DD348100 00087806
	s_mov_b64 exec, s[36:37]                                   // 000000008814: BEFE0124
	v_mov_b32_e32 v6, v69                                      // 000000008818: 7E0C0345
	s_mov_b64 s[60:61], 0                                      // 00000000881C: BEBC0180
	v_readlane_b32 s82, v3, 22                                 // 000000008820: D2890052 00012D03
	s_and_b32 s82, s82, 0xffffff                               // 000000008828: 8652FF52 00FFFFFF
	s_cmp_lt_u32 s82, s66                                      // 000000008830: BF0A4252
	s_cselect_b32 s20, s36, s60                                // 000000008834: 85143C24
	v_readlane_b32 s82, v3, 23                                 // 000000008838: D2890052 00012F03
	s_and_b32 s82, s82, 0xffffff                               // 000000008840: 8652FF52 00FFFFFF
	s_cmp_lt_u32 s82, s66                                      // 000000008848: BF0A4252
	s_cselect_b32 s21, s36, s60                                // 00000000884C: 85153C24
	s_mov_b64 exec, s[20:21]                                   // 000000008850: BEFE0114
	global_atomic_add_f32 v6, v117, s[8:9]                     // 000000008854: DD348000 00087506
	global_atomic_add_f32 v6, v121, s[8:9] offset:256          // 00000000885C: DD348100 00087906
	s_mov_b64 exec, s[36:37]                                   // 000000008864: BEFE0124
	v_mov_b32_e32 v6, v70                                      // 000000008868: 7E0C0346
	s_mov_b64 s[60:61], 0                                      // 00000000886C: BEBC0180
	v_readlane_b32 s82, v3, 24                                 // 000000008870: D2890052 00013103
	s_and_b32 s82, s82, 0xffffff                               // 000000008878: 8652FF52 00FFFFFF
	s_cmp_lt_u32 s82, s66                                      // 000000008880: BF0A4252
	s_cselect_b32 s20, s36, s60                                // 000000008884: 85143C24
	v_readlane_b32 s82, v3, 25                                 // 000000008888: D2890052 00013303
	s_and_b32 s82, s82, 0xffffff                               // 000000008890: 8652FF52 00FFFFFF
	s_cmp_lt_u32 s82, s66                                      // 000000008898: BF0A4252
	s_cselect_b32 s21, s36, s60                                // 00000000889C: 85153C24
	s_mov_b64 exec, s[20:21]                                   // 0000000088A0: BEFE0114
	global_atomic_add_f32 v6, v124, s[8:9]                     // 0000000088A4: DD348000 00087C06
	global_atomic_add_f32 v6, v128, s[8:9] offset:256          // 0000000088AC: DD348100 00088006
	s_mov_b64 exec, s[36:37]                                   // 0000000088B4: BEFE0124
	v_mov_b32_e32 v6, v71                                      // 0000000088B8: 7E0C0347
	s_mov_b64 s[60:61], 0                                      // 0000000088BC: BEBC0180
	v_readlane_b32 s82, v3, 26                                 // 0000000088C0: D2890052 00013503
	s_and_b32 s82, s82, 0xffffff                               // 0000000088C8: 8652FF52 00FFFFFF
	s_cmp_lt_u32 s82, s66                                      // 0000000088D0: BF0A4252
	s_cselect_b32 s20, s36, s60                                // 0000000088D4: 85143C24
	v_readlane_b32 s82, v3, 27                                 // 0000000088D8: D2890052 00013703
	s_and_b32 s82, s82, 0xffffff                               // 0000000088E0: 8652FF52 00FFFFFF
	s_cmp_lt_u32 s82, s66                                      // 0000000088E8: BF0A4252
	s_cselect_b32 s21, s36, s60                                // 0000000088EC: 85153C24
	s_mov_b64 exec, s[20:21]                                   // 0000000088F0: BEFE0114
	global_atomic_add_f32 v6, v125, s[8:9]                     // 0000000088F4: DD348000 00087D06
	global_atomic_add_f32 v6, v129, s[8:9] offset:256          // 0000000088FC: DD348100 00088106
	s_mov_b64 exec, s[36:37]                                   // 000000008904: BEFE0124
	ds_write_b64 v20, v[78:79]                                 // 000000008908: D89A0000 00004E14
	ds_write_b64 v20, v[82:83] offset:4352                     // 000000008910: D89A1100 00005214
	ds_write_b64 v20, v[86:87] offset:8704                     // 000000008918: D89A2200 00005614
	ds_write_b64 v20, v[90:91] offset:13056                    // 000000008920: D89A3300 00005A14
	ds_write_b64 v20, v[94:95] offset:17408                    // 000000008928: D89A4400 00005E14
	ds_write_b64 v20, v[98:99] offset:21760                    // 000000008930: D89A5500 00006214
	ds_write_b64 v20, v[102:103] offset:26112                  // 000000008938: D89A6600 00006614
	ds_write_b64 v20, v[106:107] offset:2176                   // 000000008940: D89A0880 00006A14
	ds_write_b64 v20, v[110:111] offset:6528                   // 000000008948: D89A1980 00006E14
	ds_write_b64 v20, v[114:115] offset:10880                  // 000000008950: D89A2A80 00007214
	ds_write_b64 v20, v[118:119] offset:15232                  // 000000008958: D89A3B80 00007614
	ds_write_b64 v20, v[122:123] offset:19584                  // 000000008960: D89A4C80 00007A14
	ds_write_b64 v20, v[126:127] offset:23936                  // 000000008968: D89A5D80 00007E14
	ds_write_b64 v20, v[130:131] offset:28288                  // 000000008970: D89A6E80 00008214
	s_waitcnt lgkmcnt(0)                                       // 000000008978: BF8CC07F
	s_barrier                                                  // 00000000897C: BF8A0000
	ds_read_b32 v78, v21                                       // 000000008980: D86C0000 4E000015
	ds_read_b32 v79, v21 offset:64                             // 000000008988: D86C0040 4F000015
	ds_read_b32 v82, v21 offset:2176                           // 000000008990: D86C0880 52000015
	ds_read_b32 v83, v21 offset:2240                           // 000000008998: D86C08C0 53000015
	ds_read_b32 v86, v21 offset:4352                           // 0000000089A0: D86C1100 56000015
	ds_read_b32 v87, v21 offset:4416                           // 0000000089A8: D86C1140 57000015
	ds_read_b32 v90, v21 offset:6528                           // 0000000089B0: D86C1980 5A000015
	ds_read_b32 v91, v21 offset:6592                           // 0000000089B8: D86C19C0 5B000015
	ds_read_b32 v94, v21 offset:8704                           // 0000000089C0: D86C2200 5E000015
	ds_read_b32 v95, v21 offset:8768                           // 0000000089C8: D86C2240 5F000015
	ds_read_b32 v98, v21 offset:10880                          // 0000000089D0: D86C2A80 62000015
	ds_read_b32 v99, v21 offset:10944                          // 0000000089D8: D86C2AC0 63000015
	ds_read_b32 v102, v21 offset:13056                         // 0000000089E0: D86C3300 66000015
	ds_read_b32 v103, v21 offset:13120                         // 0000000089E8: D86C3340 67000015
	ds_read_b32 v106, v21 offset:15232                         // 0000000089F0: D86C3B80 6A000015
	ds_read_b32 v107, v21 offset:15296                         // 0000000089F8: D86C3BC0 6B000015
	ds_read_b32 v110, v21 offset:17408                         // 000000008A00: D86C4400 6E000015
	ds_read_b32 v111, v21 offset:17472                         // 000000008A08: D86C4440 6F000015
	ds_read_b32 v114, v21 offset:19584                         // 000000008A10: D86C4C80 72000015
	ds_read_b32 v115, v21 offset:19648                         // 000000008A18: D86C4CC0 73000015
	ds_read_b32 v118, v21 offset:21760                         // 000000008A20: D86C5500 76000015
	ds_read_b32 v119, v21 offset:21824                         // 000000008A28: D86C5540 77000015
	ds_read_b32 v122, v21 offset:23936                         // 000000008A30: D86C5D80 7A000015
	ds_read_b32 v123, v21 offset:24000                         // 000000008A38: D86C5DC0 7B000015
	ds_read_b32 v126, v21 offset:26112                         // 000000008A40: D86C6600 7E000015
	ds_read_b32 v127, v21 offset:26176                         // 000000008A48: D86C6640 7F000015
	ds_read_b32 v130, v21 offset:28288                         // 000000008A50: D86C6E80 82000015
	ds_read_b32 v131, v21 offset:28352                         // 000000008A58: D86C6EC0 83000015
	s_waitcnt lgkmcnt(0)                                       // 000000008A60: BF8CC07F
	v_mov_b32_e32 v7, 0                                        // 000000008A64: 7E0E0280
	s_mov_b64 exec, s[36:37]                                   // 000000008A68: BEFE0124
	v_mov_b32_e32 v6, v58                                      // 000000008A6C: 7E0C033A
	s_mov_b64 s[60:61], 0                                      // 000000008A70: BEBC0180
	v_readlane_b32 s82, v3, 0                                  // 000000008A74: D2890052 00010103
	s_and_b32 s82, s82, 0xffffff                               // 000000008A7C: 8652FF52 00FFFFFF
	s_cmp_lt_u32 s82, s66                                      // 000000008A84: BF0A4252
	s_cselect_b32 s20, s36, s60                                // 000000008A88: 85143C24
	v_readlane_b32 s82, v3, 1                                  // 000000008A8C: D2890052 00010303
	s_and_b32 s82, s82, 0xffffff                               // 000000008A94: 8652FF52 00FFFFFF
	s_cmp_lt_u32 s82, s66                                      // 000000008A9C: BF0A4252
	s_cselect_b32 s21, s36, s60                                // 000000008AA0: 85153C24
	s_mov_b64 exec, s[20:21]                                   // 000000008AA4: BEFE0114
	global_atomic_add_f32 v6, v78, s[8:9] offset:8             // 000000008AA8: DD348008 00084E06
	global_atomic_add_f32 v6, v82, s[8:9] offset:264           // 000000008AB0: DD348108 00085206
	s_mov_b64 exec, s[36:37]                                   // 000000008AB8: BEFE0124
	v_mov_b32_e32 v6, v59                                      // 000000008ABC: 7E0C033B
	s_mov_b64 s[60:61], 0                                      // 000000008AC0: BEBC0180
	v_readlane_b32 s82, v3, 2                                  // 000000008AC4: D2890052 00010503
	s_and_b32 s82, s82, 0xffffff                               // 000000008ACC: 8652FF52 00FFFFFF
	s_cmp_lt_u32 s82, s66                                      // 000000008AD4: BF0A4252
	s_cselect_b32 s20, s36, s60                                // 000000008AD8: 85143C24
	v_readlane_b32 s82, v3, 3                                  // 000000008ADC: D2890052 00010703
	s_and_b32 s82, s82, 0xffffff                               // 000000008AE4: 8652FF52 00FFFFFF
	s_cmp_lt_u32 s82, s66                                      // 000000008AEC: BF0A4252
	s_cselect_b32 s21, s36, s60                                // 000000008AF0: 85153C24
	s_mov_b64 exec, s[20:21]                                   // 000000008AF4: BEFE0114
	global_atomic_add_f32 v6, v79, s[8:9] offset:8             // 000000008AF8: DD348008 00084F06
	global_atomic_add_f32 v6, v83, s[8:9] offset:264           // 000000008B00: DD348108 00085306
	s_mov_b64 exec, s[36:37]                                   // 000000008B08: BEFE0124
	v_mov_b32_e32 v6, v60                                      // 000000008B0C: 7E0C033C
	s_mov_b64 s[60:61], 0                                      // 000000008B10: BEBC0180
	v_readlane_b32 s82, v3, 4                                  // 000000008B14: D2890052 00010903
	s_and_b32 s82, s82, 0xffffff                               // 000000008B1C: 8652FF52 00FFFFFF
	s_cmp_lt_u32 s82, s66                                      // 000000008B24: BF0A4252
	s_cselect_b32 s20, s36, s60                                // 000000008B28: 85143C24
	v_readlane_b32 s82, v3, 5                                  // 000000008B2C: D2890052 00010B03
	s_and_b32 s82, s82, 0xffffff                               // 000000008B34: 8652FF52 00FFFFFF
	s_cmp_lt_u32 s82, s66                                      // 000000008B3C: BF0A4252
	s_cselect_b32 s21, s36, s60                                // 000000008B40: 85153C24
	s_mov_b64 exec, s[20:21]                                   // 000000008B44: BEFE0114
	global_atomic_add_f32 v6, v86, s[8:9] offset:8             // 000000008B48: DD348008 00085606
	global_atomic_add_f32 v6, v90, s[8:9] offset:264           // 000000008B50: DD348108 00085A06
	s_mov_b64 exec, s[36:37]                                   // 000000008B58: BEFE0124
	v_mov_b32_e32 v6, v61                                      // 000000008B5C: 7E0C033D
	s_mov_b64 s[60:61], 0                                      // 000000008B60: BEBC0180
	v_readlane_b32 s82, v3, 6                                  // 000000008B64: D2890052 00010D03
	s_and_b32 s82, s82, 0xffffff                               // 000000008B6C: 8652FF52 00FFFFFF
	s_cmp_lt_u32 s82, s66                                      // 000000008B74: BF0A4252
	s_cselect_b32 s20, s36, s60                                // 000000008B78: 85143C24
	v_readlane_b32 s82, v3, 7                                  // 000000008B7C: D2890052 00010F03
	s_and_b32 s82, s82, 0xffffff                               // 000000008B84: 8652FF52 00FFFFFF
	s_cmp_lt_u32 s82, s66                                      // 000000008B8C: BF0A4252
	s_cselect_b32 s21, s36, s60                                // 000000008B90: 85153C24
	s_mov_b64 exec, s[20:21]                                   // 000000008B94: BEFE0114
	global_atomic_add_f32 v6, v87, s[8:9] offset:8             // 000000008B98: DD348008 00085706
	global_atomic_add_f32 v6, v91, s[8:9] offset:264           // 000000008BA0: DD348108 00085B06
	s_mov_b64 exec, s[36:37]                                   // 000000008BA8: BEFE0124
	v_mov_b32_e32 v6, v62                                      // 000000008BAC: 7E0C033E
	s_mov_b64 s[60:61], 0                                      // 000000008BB0: BEBC0180
	v_readlane_b32 s82, v3, 8                                  // 000000008BB4: D2890052 00011103
	s_and_b32 s82, s82, 0xffffff                               // 000000008BBC: 8652FF52 00FFFFFF
	s_cmp_lt_u32 s82, s66                                      // 000000008BC4: BF0A4252
	s_cselect_b32 s20, s36, s60                                // 000000008BC8: 85143C24
	v_readlane_b32 s82, v3, 9                                  // 000000008BCC: D2890052 00011303
	s_and_b32 s82, s82, 0xffffff                               // 000000008BD4: 8652FF52 00FFFFFF
	s_cmp_lt_u32 s82, s66                                      // 000000008BDC: BF0A4252
	s_cselect_b32 s21, s36, s60                                // 000000008BE0: 85153C24
	s_mov_b64 exec, s[20:21]                                   // 000000008BE4: BEFE0114
	global_atomic_add_f32 v6, v94, s[8:9] offset:8             // 000000008BE8: DD348008 00085E06
	global_atomic_add_f32 v6, v98, s[8:9] offset:264           // 000000008BF0: DD348108 00086206
	s_mov_b64 exec, s[36:37]                                   // 000000008BF8: BEFE0124
	v_mov_b32_e32 v6, v63                                      // 000000008BFC: 7E0C033F
	s_mov_b64 s[60:61], 0                                      // 000000008C00: BEBC0180
	v_readlane_b32 s82, v3, 10                                 // 000000008C04: D2890052 00011503
	s_and_b32 s82, s82, 0xffffff                               // 000000008C0C: 8652FF52 00FFFFFF
	s_cmp_lt_u32 s82, s66                                      // 000000008C14: BF0A4252
	s_cselect_b32 s20, s36, s60                                // 000000008C18: 85143C24
	v_readlane_b32 s82, v3, 11                                 // 000000008C1C: D2890052 00011703
	s_and_b32 s82, s82, 0xffffff                               // 000000008C24: 8652FF52 00FFFFFF
	s_cmp_lt_u32 s82, s66                                      // 000000008C2C: BF0A4252
	s_cselect_b32 s21, s36, s60                                // 000000008C30: 85153C24
	s_mov_b64 exec, s[20:21]                                   // 000000008C34: BEFE0114
	global_atomic_add_f32 v6, v95, s[8:9] offset:8             // 000000008C38: DD348008 00085F06
	global_atomic_add_f32 v6, v99, s[8:9] offset:264           // 000000008C40: DD348108 00086306
	s_mov_b64 exec, s[36:37]                                   // 000000008C48: BEFE0124
	v_mov_b32_e32 v6, v64                                      // 000000008C4C: 7E0C0340
	s_mov_b64 s[60:61], 0                                      // 000000008C50: BEBC0180
	v_readlane_b32 s82, v3, 12                                 // 000000008C54: D2890052 00011903
	s_and_b32 s82, s82, 0xffffff                               // 000000008C5C: 8652FF52 00FFFFFF
	s_cmp_lt_u32 s82, s66                                      // 000000008C64: BF0A4252
	s_cselect_b32 s20, s36, s60                                // 000000008C68: 85143C24
	v_readlane_b32 s82, v3, 13                                 // 000000008C6C: D2890052 00011B03
	s_and_b32 s82, s82, 0xffffff                               // 000000008C74: 8652FF52 00FFFFFF
	s_cmp_lt_u32 s82, s66                                      // 000000008C7C: BF0A4252
	s_cselect_b32 s21, s36, s60                                // 000000008C80: 85153C24
	s_mov_b64 exec, s[20:21]                                   // 000000008C84: BEFE0114
	global_atomic_add_f32 v6, v102, s[8:9] offset:8            // 000000008C88: DD348008 00086606
	global_atomic_add_f32 v6, v106, s[8:9] offset:264          // 000000008C90: DD348108 00086A06
	s_mov_b64 exec, s[36:37]                                   // 000000008C98: BEFE0124
	v_mov_b32_e32 v6, v65                                      // 000000008C9C: 7E0C0341
	s_mov_b64 s[60:61], 0                                      // 000000008CA0: BEBC0180
	v_readlane_b32 s82, v3, 14                                 // 000000008CA4: D2890052 00011D03
	s_and_b32 s82, s82, 0xffffff                               // 000000008CAC: 8652FF52 00FFFFFF
	s_cmp_lt_u32 s82, s66                                      // 000000008CB4: BF0A4252
	s_cselect_b32 s20, s36, s60                                // 000000008CB8: 85143C24
	v_readlane_b32 s82, v3, 15                                 // 000000008CBC: D2890052 00011F03
	s_and_b32 s82, s82, 0xffffff                               // 000000008CC4: 8652FF52 00FFFFFF
	s_cmp_lt_u32 s82, s66                                      // 000000008CCC: BF0A4252
	s_cselect_b32 s21, s36, s60                                // 000000008CD0: 85153C24
	s_mov_b64 exec, s[20:21]                                   // 000000008CD4: BEFE0114
	global_atomic_add_f32 v6, v103, s[8:9] offset:8            // 000000008CD8: DD348008 00086706
	global_atomic_add_f32 v6, v107, s[8:9] offset:264          // 000000008CE0: DD348108 00086B06
	s_mov_b64 exec, s[36:37]                                   // 000000008CE8: BEFE0124
	v_mov_b32_e32 v6, v66                                      // 000000008CEC: 7E0C0342
	s_mov_b64 s[60:61], 0                                      // 000000008CF0: BEBC0180
	v_readlane_b32 s82, v3, 16                                 // 000000008CF4: D2890052 00012103
	s_and_b32 s82, s82, 0xffffff                               // 000000008CFC: 8652FF52 00FFFFFF
	s_cmp_lt_u32 s82, s66                                      // 000000008D04: BF0A4252
	s_cselect_b32 s20, s36, s60                                // 000000008D08: 85143C24
	v_readlane_b32 s82, v3, 17                                 // 000000008D0C: D2890052 00012303
	s_and_b32 s82, s82, 0xffffff                               // 000000008D14: 8652FF52 00FFFFFF
	s_cmp_lt_u32 s82, s66                                      // 000000008D1C: BF0A4252
	s_cselect_b32 s21, s36, s60                                // 000000008D20: 85153C24
	s_mov_b64 exec, s[20:21]                                   // 000000008D24: BEFE0114
	global_atomic_add_f32 v6, v110, s[8:9] offset:8            // 000000008D28: DD348008 00086E06
	global_atomic_add_f32 v6, v114, s[8:9] offset:264          // 000000008D30: DD348108 00087206
	s_mov_b64 exec, s[36:37]                                   // 000000008D38: BEFE0124
	v_mov_b32_e32 v6, v67                                      // 000000008D3C: 7E0C0343
	s_mov_b64 s[60:61], 0                                      // 000000008D40: BEBC0180
	v_readlane_b32 s82, v3, 18                                 // 000000008D44: D2890052 00012503
	s_and_b32 s82, s82, 0xffffff                               // 000000008D4C: 8652FF52 00FFFFFF
	s_cmp_lt_u32 s82, s66                                      // 000000008D54: BF0A4252
	s_cselect_b32 s20, s36, s60                                // 000000008D58: 85143C24
	v_readlane_b32 s82, v3, 19                                 // 000000008D5C: D2890052 00012703
	s_and_b32 s82, s82, 0xffffff                               // 000000008D64: 8652FF52 00FFFFFF
	s_cmp_lt_u32 s82, s66                                      // 000000008D6C: BF0A4252
	s_cselect_b32 s21, s36, s60                                // 000000008D70: 85153C24
	s_mov_b64 exec, s[20:21]                                   // 000000008D74: BEFE0114
	global_atomic_add_f32 v6, v111, s[8:9] offset:8            // 000000008D78: DD348008 00086F06
	global_atomic_add_f32 v6, v115, s[8:9] offset:264          // 000000008D80: DD348108 00087306
	s_mov_b64 exec, s[36:37]                                   // 000000008D88: BEFE0124
	v_mov_b32_e32 v6, v68                                      // 000000008D8C: 7E0C0344
	s_mov_b64 s[60:61], 0                                      // 000000008D90: BEBC0180
	v_readlane_b32 s82, v3, 20                                 // 000000008D94: D2890052 00012903
	s_and_b32 s82, s82, 0xffffff                               // 000000008D9C: 8652FF52 00FFFFFF
	s_cmp_lt_u32 s82, s66                                      // 000000008DA4: BF0A4252
	s_cselect_b32 s20, s36, s60                                // 000000008DA8: 85143C24
	v_readlane_b32 s82, v3, 21                                 // 000000008DAC: D2890052 00012B03
	s_and_b32 s82, s82, 0xffffff                               // 000000008DB4: 8652FF52 00FFFFFF
	s_cmp_lt_u32 s82, s66                                      // 000000008DBC: BF0A4252
	s_cselect_b32 s21, s36, s60                                // 000000008DC0: 85153C24
	s_mov_b64 exec, s[20:21]                                   // 000000008DC4: BEFE0114
	global_atomic_add_f32 v6, v118, s[8:9] offset:8            // 000000008DC8: DD348008 00087606
	global_atomic_add_f32 v6, v122, s[8:9] offset:264          // 000000008DD0: DD348108 00087A06
	s_mov_b64 exec, s[36:37]                                   // 000000008DD8: BEFE0124
	v_mov_b32_e32 v6, v69                                      // 000000008DDC: 7E0C0345
	s_mov_b64 s[60:61], 0                                      // 000000008DE0: BEBC0180
	v_readlane_b32 s82, v3, 22                                 // 000000008DE4: D2890052 00012D03
	s_and_b32 s82, s82, 0xffffff                               // 000000008DEC: 8652FF52 00FFFFFF
	s_cmp_lt_u32 s82, s66                                      // 000000008DF4: BF0A4252
	s_cselect_b32 s20, s36, s60                                // 000000008DF8: 85143C24
	v_readlane_b32 s82, v3, 23                                 // 000000008DFC: D2890052 00012F03
	s_and_b32 s82, s82, 0xffffff                               // 000000008E04: 8652FF52 00FFFFFF
	s_cmp_lt_u32 s82, s66                                      // 000000008E0C: BF0A4252
	s_cselect_b32 s21, s36, s60                                // 000000008E10: 85153C24
	s_mov_b64 exec, s[20:21]                                   // 000000008E14: BEFE0114
	global_atomic_add_f32 v6, v119, s[8:9] offset:8            // 000000008E18: DD348008 00087706
	global_atomic_add_f32 v6, v123, s[8:9] offset:264          // 000000008E20: DD348108 00087B06
	s_mov_b64 exec, s[36:37]                                   // 000000008E28: BEFE0124
	v_mov_b32_e32 v6, v70                                      // 000000008E2C: 7E0C0346
	s_mov_b64 s[60:61], 0                                      // 000000008E30: BEBC0180
	v_readlane_b32 s82, v3, 24                                 // 000000008E34: D2890052 00013103
	s_and_b32 s82, s82, 0xffffff                               // 000000008E3C: 8652FF52 00FFFFFF
	s_cmp_lt_u32 s82, s66                                      // 000000008E44: BF0A4252
	s_cselect_b32 s20, s36, s60                                // 000000008E48: 85143C24
	v_readlane_b32 s82, v3, 25                                 // 000000008E4C: D2890052 00013303
	s_and_b32 s82, s82, 0xffffff                               // 000000008E54: 8652FF52 00FFFFFF
	s_cmp_lt_u32 s82, s66                                      // 000000008E5C: BF0A4252
	s_cselect_b32 s21, s36, s60                                // 000000008E60: 85153C24
	s_mov_b64 exec, s[20:21]                                   // 000000008E64: BEFE0114
	global_atomic_add_f32 v6, v126, s[8:9] offset:8            // 000000008E68: DD348008 00087E06
	global_atomic_add_f32 v6, v130, s[8:9] offset:264          // 000000008E70: DD348108 00088206
	s_mov_b64 exec, s[36:37]                                   // 000000008E78: BEFE0124
	v_mov_b32_e32 v6, v71                                      // 000000008E7C: 7E0C0347
	s_mov_b64 s[60:61], 0                                      // 000000008E80: BEBC0180
	v_readlane_b32 s82, v3, 26                                 // 000000008E84: D2890052 00013503
	s_and_b32 s82, s82, 0xffffff                               // 000000008E8C: 8652FF52 00FFFFFF
	s_cmp_lt_u32 s82, s66                                      // 000000008E94: BF0A4252
	s_cselect_b32 s20, s36, s60                                // 000000008E98: 85143C24
	v_readlane_b32 s82, v3, 27                                 // 000000008E9C: D2890052 00013703
	s_and_b32 s82, s82, 0xffffff                               // 000000008EA4: 8652FF52 00FFFFFF
	s_cmp_lt_u32 s82, s66                                      // 000000008EAC: BF0A4252
	s_cselect_b32 s21, s36, s60                                // 000000008EB0: 85153C24
	s_mov_b64 exec, s[20:21]                                   // 000000008EB4: BEFE0114
	global_atomic_add_f32 v6, v127, s[8:9] offset:8            // 000000008EB8: DD348008 00087F06
	global_atomic_add_f32 v6, v131, s[8:9] offset:264          // 000000008EC0: DD348108 00088306
	s_mov_b64 exec, s[36:37]                                   // 000000008EC8: BEFE0124
	ds_write_b64 v20, v[132:133]                               // 000000008ECC: D89A0000 00008414
	ds_write_b64 v20, v[136:137] offset:4352                   // 000000008ED4: D89A1100 00008814
	ds_write_b64 v20, v[140:141] offset:8704                   // 000000008EDC: D89A2200 00008C14
	ds_write_b64 v20, v[144:145] offset:13056                  // 000000008EE4: D89A3300 00009014
	ds_write_b64 v20, v[148:149] offset:17408                  // 000000008EEC: D89A4400 00009414
	ds_write_b64 v20, v[152:153] offset:21760                  // 000000008EF4: D89A5500 00009814
	ds_write_b64 v20, v[156:157] offset:26112                  // 000000008EFC: D89A6600 00009C14
	ds_write_b64 v20, v[160:161] offset:2176                   // 000000008F04: D89A0880 0000A014
	ds_write_b64 v20, v[164:165] offset:6528                   // 000000008F0C: D89A1980 0000A414
	ds_write_b64 v20, v[168:169] offset:10880                  // 000000008F14: D89A2A80 0000A814
	ds_write_b64 v20, v[172:173] offset:15232                  // 000000008F1C: D89A3B80 0000AC14
	ds_write_b64 v20, v[176:177] offset:19584                  // 000000008F24: D89A4C80 0000B014
	ds_write_b64 v20, v[180:181] offset:23936                  // 000000008F2C: D89A5D80 0000B414
	ds_write_b64 v20, v[184:185] offset:28288                  // 000000008F34: D89A6E80 0000B814
	s_waitcnt lgkmcnt(0)                                       // 000000008F3C: BF8CC07F
	s_barrier                                                  // 000000008F40: BF8A0000
	ds_read_b32 v132, v21                                      // 000000008F44: D86C0000 84000015
	ds_read_b32 v133, v21 offset:64                            // 000000008F4C: D86C0040 85000015
	ds_read_b32 v136, v21 offset:2176                          // 000000008F54: D86C0880 88000015
	ds_read_b32 v137, v21 offset:2240                          // 000000008F5C: D86C08C0 89000015
	ds_read_b32 v140, v21 offset:4352                          // 000000008F64: D86C1100 8C000015
	ds_read_b32 v141, v21 offset:4416                          // 000000008F6C: D86C1140 8D000015
	ds_read_b32 v144, v21 offset:6528                          // 000000008F74: D86C1980 90000015
	ds_read_b32 v145, v21 offset:6592                          // 000000008F7C: D86C19C0 91000015
	ds_read_b32 v148, v21 offset:8704                          // 000000008F84: D86C2200 94000015
	ds_read_b32 v149, v21 offset:8768                          // 000000008F8C: D86C2240 95000015
	ds_read_b32 v152, v21 offset:10880                         // 000000008F94: D86C2A80 98000015
	ds_read_b32 v153, v21 offset:10944                         // 000000008F9C: D86C2AC0 99000015
	ds_read_b32 v156, v21 offset:13056                         // 000000008FA4: D86C3300 9C000015
	ds_read_b32 v157, v21 offset:13120                         // 000000008FAC: D86C3340 9D000015
	ds_read_b32 v160, v21 offset:15232                         // 000000008FB4: D86C3B80 A0000015
	ds_read_b32 v161, v21 offset:15296                         // 000000008FBC: D86C3BC0 A1000015
	ds_read_b32 v164, v21 offset:17408                         // 000000008FC4: D86C4400 A4000015
	ds_read_b32 v165, v21 offset:17472                         // 000000008FCC: D86C4440 A5000015
	ds_read_b32 v168, v21 offset:19584                         // 000000008FD4: D86C4C80 A8000015
	ds_read_b32 v169, v21 offset:19648                         // 000000008FDC: D86C4CC0 A9000015
	ds_read_b32 v172, v21 offset:21760                         // 000000008FE4: D86C5500 AC000015
	ds_read_b32 v173, v21 offset:21824                         // 000000008FEC: D86C5540 AD000015
	ds_read_b32 v176, v21 offset:23936                         // 000000008FF4: D86C5D80 B0000015
	ds_read_b32 v177, v21 offset:24000                         // 000000008FFC: D86C5DC0 B1000015
	ds_read_b32 v180, v21 offset:26112                         // 000000009004: D86C6600 B4000015
	ds_read_b32 v181, v21 offset:26176                         // 00000000900C: D86C6640 B5000015
	ds_read_b32 v184, v21 offset:28288                         // 000000009014: D86C6E80 B8000015
	ds_read_b32 v185, v21 offset:28352                         // 00000000901C: D86C6EC0 B9000015
	s_mul_i32 s60, s65, 4                                      // 000000009024: 923C8441
	s_add_u32 s8, s60, s8                                      // 000000009028: 8008083C
	s_addc_u32 s9, 0, s9                                       // 00000000902C: 82090980
	s_waitcnt lgkmcnt(0)                                       // 000000009030: BF8CC07F
	v_mov_b32_e32 v7, 0                                        // 000000009034: 7E0E0280
	s_mov_b64 exec, s[36:37]                                   // 000000009038: BEFE0124
	v_mov_b32_e32 v6, v58                                      // 00000000903C: 7E0C033A
	s_mov_b64 s[60:61], 0                                      // 000000009040: BEBC0180
	v_readlane_b32 s82, v3, 0                                  // 000000009044: D2890052 00010103
	s_and_b32 s82, s82, 0xffffff                               // 00000000904C: 8652FF52 00FFFFFF
	s_cmp_lt_u32 s82, s66                                      // 000000009054: BF0A4252
	s_cselect_b32 s20, s36, s60                                // 000000009058: 85143C24
	v_readlane_b32 s82, v3, 1                                  // 00000000905C: D2890052 00010303
	s_and_b32 s82, s82, 0xffffff                               // 000000009064: 8652FF52 00FFFFFF
	s_cmp_lt_u32 s82, s66                                      // 00000000906C: BF0A4252
	s_cselect_b32 s21, s36, s60                                // 000000009070: 85153C24
	s_mov_b64 exec, s[20:21]                                   // 000000009074: BEFE0114
	global_atomic_add_f32 v6, v132, s[8:9]                     // 000000009078: DD348000 00088406
	global_atomic_add_f32 v6, v136, s[8:9] offset:256          // 000000009080: DD348100 00088806
	s_mov_b64 exec, s[36:37]                                   // 000000009088: BEFE0124
	v_mov_b32_e32 v6, v59                                      // 00000000908C: 7E0C033B
	s_mov_b64 s[60:61], 0                                      // 000000009090: BEBC0180
	v_readlane_b32 s82, v3, 2                                  // 000000009094: D2890052 00010503
	s_and_b32 s82, s82, 0xffffff                               // 00000000909C: 8652FF52 00FFFFFF
	s_cmp_lt_u32 s82, s66                                      // 0000000090A4: BF0A4252
	s_cselect_b32 s20, s36, s60                                // 0000000090A8: 85143C24
	v_readlane_b32 s82, v3, 3                                  // 0000000090AC: D2890052 00010703
	s_and_b32 s82, s82, 0xffffff                               // 0000000090B4: 8652FF52 00FFFFFF
	s_cmp_lt_u32 s82, s66                                      // 0000000090BC: BF0A4252
	s_cselect_b32 s21, s36, s60                                // 0000000090C0: 85153C24
	s_mov_b64 exec, s[20:21]                                   // 0000000090C4: BEFE0114
	global_atomic_add_f32 v6, v133, s[8:9]                     // 0000000090C8: DD348000 00088506
	global_atomic_add_f32 v6, v137, s[8:9] offset:256          // 0000000090D0: DD348100 00088906
	s_mov_b64 exec, s[36:37]                                   // 0000000090D8: BEFE0124
	v_mov_b32_e32 v6, v60                                      // 0000000090DC: 7E0C033C
	s_mov_b64 s[60:61], 0                                      // 0000000090E0: BEBC0180
	v_readlane_b32 s82, v3, 4                                  // 0000000090E4: D2890052 00010903
	s_and_b32 s82, s82, 0xffffff                               // 0000000090EC: 8652FF52 00FFFFFF
	s_cmp_lt_u32 s82, s66                                      // 0000000090F4: BF0A4252
	s_cselect_b32 s20, s36, s60                                // 0000000090F8: 85143C24
	v_readlane_b32 s82, v3, 5                                  // 0000000090FC: D2890052 00010B03
	s_and_b32 s82, s82, 0xffffff                               // 000000009104: 8652FF52 00FFFFFF
	s_cmp_lt_u32 s82, s66                                      // 00000000910C: BF0A4252
	s_cselect_b32 s21, s36, s60                                // 000000009110: 85153C24
	s_mov_b64 exec, s[20:21]                                   // 000000009114: BEFE0114
	global_atomic_add_f32 v6, v140, s[8:9]                     // 000000009118: DD348000 00088C06
	global_atomic_add_f32 v6, v144, s[8:9] offset:256          // 000000009120: DD348100 00089006
	s_mov_b64 exec, s[36:37]                                   // 000000009128: BEFE0124
	v_mov_b32_e32 v6, v61                                      // 00000000912C: 7E0C033D
	s_mov_b64 s[60:61], 0                                      // 000000009130: BEBC0180
	v_readlane_b32 s82, v3, 6                                  // 000000009134: D2890052 00010D03
	s_and_b32 s82, s82, 0xffffff                               // 00000000913C: 8652FF52 00FFFFFF
	s_cmp_lt_u32 s82, s66                                      // 000000009144: BF0A4252
	s_cselect_b32 s20, s36, s60                                // 000000009148: 85143C24
	v_readlane_b32 s82, v3, 7                                  // 00000000914C: D2890052 00010F03
	s_and_b32 s82, s82, 0xffffff                               // 000000009154: 8652FF52 00FFFFFF
	s_cmp_lt_u32 s82, s66                                      // 00000000915C: BF0A4252
	s_cselect_b32 s21, s36, s60                                // 000000009160: 85153C24
	s_mov_b64 exec, s[20:21]                                   // 000000009164: BEFE0114
	global_atomic_add_f32 v6, v141, s[8:9]                     // 000000009168: DD348000 00088D06
	global_atomic_add_f32 v6, v145, s[8:9] offset:256          // 000000009170: DD348100 00089106
	s_mov_b64 exec, s[36:37]                                   // 000000009178: BEFE0124
	v_mov_b32_e32 v6, v62                                      // 00000000917C: 7E0C033E
	s_mov_b64 s[60:61], 0                                      // 000000009180: BEBC0180
	v_readlane_b32 s82, v3, 8                                  // 000000009184: D2890052 00011103
	s_and_b32 s82, s82, 0xffffff                               // 00000000918C: 8652FF52 00FFFFFF
	s_cmp_lt_u32 s82, s66                                      // 000000009194: BF0A4252
	s_cselect_b32 s20, s36, s60                                // 000000009198: 85143C24
	v_readlane_b32 s82, v3, 9                                  // 00000000919C: D2890052 00011303
	s_and_b32 s82, s82, 0xffffff                               // 0000000091A4: 8652FF52 00FFFFFF
	s_cmp_lt_u32 s82, s66                                      // 0000000091AC: BF0A4252
	s_cselect_b32 s21, s36, s60                                // 0000000091B0: 85153C24
	s_mov_b64 exec, s[20:21]                                   // 0000000091B4: BEFE0114
	global_atomic_add_f32 v6, v148, s[8:9]                     // 0000000091B8: DD348000 00089406
	global_atomic_add_f32 v6, v152, s[8:9] offset:256          // 0000000091C0: DD348100 00089806
	s_mov_b64 exec, s[36:37]                                   // 0000000091C8: BEFE0124
	v_mov_b32_e32 v6, v63                                      // 0000000091CC: 7E0C033F
	s_mov_b64 s[60:61], 0                                      // 0000000091D0: BEBC0180
	v_readlane_b32 s82, v3, 10                                 // 0000000091D4: D2890052 00011503
	s_and_b32 s82, s82, 0xffffff                               // 0000000091DC: 8652FF52 00FFFFFF
	s_cmp_lt_u32 s82, s66                                      // 0000000091E4: BF0A4252
	s_cselect_b32 s20, s36, s60                                // 0000000091E8: 85143C24
	v_readlane_b32 s82, v3, 11                                 // 0000000091EC: D2890052 00011703
	s_and_b32 s82, s82, 0xffffff                               // 0000000091F4: 8652FF52 00FFFFFF
	s_cmp_lt_u32 s82, s66                                      // 0000000091FC: BF0A4252
	s_cselect_b32 s21, s36, s60                                // 000000009200: 85153C24
	s_mov_b64 exec, s[20:21]                                   // 000000009204: BEFE0114
	global_atomic_add_f32 v6, v149, s[8:9]                     // 000000009208: DD348000 00089506
	global_atomic_add_f32 v6, v153, s[8:9] offset:256          // 000000009210: DD348100 00089906
	s_mov_b64 exec, s[36:37]                                   // 000000009218: BEFE0124
	v_mov_b32_e32 v6, v64                                      // 00000000921C: 7E0C0340
	s_mov_b64 s[60:61], 0                                      // 000000009220: BEBC0180
	v_readlane_b32 s82, v3, 12                                 // 000000009224: D2890052 00011903
	s_and_b32 s82, s82, 0xffffff                               // 00000000922C: 8652FF52 00FFFFFF
	s_cmp_lt_u32 s82, s66                                      // 000000009234: BF0A4252
	s_cselect_b32 s20, s36, s60                                // 000000009238: 85143C24
	v_readlane_b32 s82, v3, 13                                 // 00000000923C: D2890052 00011B03
	s_and_b32 s82, s82, 0xffffff                               // 000000009244: 8652FF52 00FFFFFF
	s_cmp_lt_u32 s82, s66                                      // 00000000924C: BF0A4252
	s_cselect_b32 s21, s36, s60                                // 000000009250: 85153C24
	s_mov_b64 exec, s[20:21]                                   // 000000009254: BEFE0114
	global_atomic_add_f32 v6, v156, s[8:9]                     // 000000009258: DD348000 00089C06
	global_atomic_add_f32 v6, v160, s[8:9] offset:256          // 000000009260: DD348100 0008A006
	s_mov_b64 exec, s[36:37]                                   // 000000009268: BEFE0124
	v_mov_b32_e32 v6, v65                                      // 00000000926C: 7E0C0341
	s_mov_b64 s[60:61], 0                                      // 000000009270: BEBC0180
	v_readlane_b32 s82, v3, 14                                 // 000000009274: D2890052 00011D03
	s_and_b32 s82, s82, 0xffffff                               // 00000000927C: 8652FF52 00FFFFFF
	s_cmp_lt_u32 s82, s66                                      // 000000009284: BF0A4252
	s_cselect_b32 s20, s36, s60                                // 000000009288: 85143C24
	v_readlane_b32 s82, v3, 15                                 // 00000000928C: D2890052 00011F03
	s_and_b32 s82, s82, 0xffffff                               // 000000009294: 8652FF52 00FFFFFF
	s_cmp_lt_u32 s82, s66                                      // 00000000929C: BF0A4252
	s_cselect_b32 s21, s36, s60                                // 0000000092A0: 85153C24
	s_mov_b64 exec, s[20:21]                                   // 0000000092A4: BEFE0114
	global_atomic_add_f32 v6, v157, s[8:9]                     // 0000000092A8: DD348000 00089D06
	global_atomic_add_f32 v6, v161, s[8:9] offset:256          // 0000000092B0: DD348100 0008A106
	s_mov_b64 exec, s[36:37]                                   // 0000000092B8: BEFE0124
	v_mov_b32_e32 v6, v66                                      // 0000000092BC: 7E0C0342
	s_mov_b64 s[60:61], 0                                      // 0000000092C0: BEBC0180
	v_readlane_b32 s82, v3, 16                                 // 0000000092C4: D2890052 00012103
	s_and_b32 s82, s82, 0xffffff                               // 0000000092CC: 8652FF52 00FFFFFF
	s_cmp_lt_u32 s82, s66                                      // 0000000092D4: BF0A4252
	s_cselect_b32 s20, s36, s60                                // 0000000092D8: 85143C24
	v_readlane_b32 s82, v3, 17                                 // 0000000092DC: D2890052 00012303
	s_and_b32 s82, s82, 0xffffff                               // 0000000092E4: 8652FF52 00FFFFFF
	s_cmp_lt_u32 s82, s66                                      // 0000000092EC: BF0A4252
	s_cselect_b32 s21, s36, s60                                // 0000000092F0: 85153C24
	s_mov_b64 exec, s[20:21]                                   // 0000000092F4: BEFE0114
	global_atomic_add_f32 v6, v164, s[8:9]                     // 0000000092F8: DD348000 0008A406
	global_atomic_add_f32 v6, v168, s[8:9] offset:256          // 000000009300: DD348100 0008A806
	s_mov_b64 exec, s[36:37]                                   // 000000009308: BEFE0124
	v_mov_b32_e32 v6, v67                                      // 00000000930C: 7E0C0343
	s_mov_b64 s[60:61], 0                                      // 000000009310: BEBC0180
	v_readlane_b32 s82, v3, 18                                 // 000000009314: D2890052 00012503
	s_and_b32 s82, s82, 0xffffff                               // 00000000931C: 8652FF52 00FFFFFF
	s_cmp_lt_u32 s82, s66                                      // 000000009324: BF0A4252
	s_cselect_b32 s20, s36, s60                                // 000000009328: 85143C24
	v_readlane_b32 s82, v3, 19                                 // 00000000932C: D2890052 00012703
	s_and_b32 s82, s82, 0xffffff                               // 000000009334: 8652FF52 00FFFFFF
	s_cmp_lt_u32 s82, s66                                      // 00000000933C: BF0A4252
	s_cselect_b32 s21, s36, s60                                // 000000009340: 85153C24
	s_mov_b64 exec, s[20:21]                                   // 000000009344: BEFE0114
	global_atomic_add_f32 v6, v165, s[8:9]                     // 000000009348: DD348000 0008A506
	global_atomic_add_f32 v6, v169, s[8:9] offset:256          // 000000009350: DD348100 0008A906
	s_mov_b64 exec, s[36:37]                                   // 000000009358: BEFE0124
	v_mov_b32_e32 v6, v68                                      // 00000000935C: 7E0C0344
	s_mov_b64 s[60:61], 0                                      // 000000009360: BEBC0180
	v_readlane_b32 s82, v3, 20                                 // 000000009364: D2890052 00012903
	s_and_b32 s82, s82, 0xffffff                               // 00000000936C: 8652FF52 00FFFFFF
	s_cmp_lt_u32 s82, s66                                      // 000000009374: BF0A4252
	s_cselect_b32 s20, s36, s60                                // 000000009378: 85143C24
	v_readlane_b32 s82, v3, 21                                 // 00000000937C: D2890052 00012B03
	s_and_b32 s82, s82, 0xffffff                               // 000000009384: 8652FF52 00FFFFFF
	s_cmp_lt_u32 s82, s66                                      // 00000000938C: BF0A4252
	s_cselect_b32 s21, s36, s60                                // 000000009390: 85153C24
	s_mov_b64 exec, s[20:21]                                   // 000000009394: BEFE0114
	global_atomic_add_f32 v6, v172, s[8:9]                     // 000000009398: DD348000 0008AC06
	global_atomic_add_f32 v6, v176, s[8:9] offset:256          // 0000000093A0: DD348100 0008B006
	s_mov_b64 exec, s[36:37]                                   // 0000000093A8: BEFE0124
	v_mov_b32_e32 v6, v69                                      // 0000000093AC: 7E0C0345
	s_mov_b64 s[60:61], 0                                      // 0000000093B0: BEBC0180
	v_readlane_b32 s82, v3, 22                                 // 0000000093B4: D2890052 00012D03
	s_and_b32 s82, s82, 0xffffff                               // 0000000093BC: 8652FF52 00FFFFFF
	s_cmp_lt_u32 s82, s66                                      // 0000000093C4: BF0A4252
	s_cselect_b32 s20, s36, s60                                // 0000000093C8: 85143C24
	v_readlane_b32 s82, v3, 23                                 // 0000000093CC: D2890052 00012F03
	s_and_b32 s82, s82, 0xffffff                               // 0000000093D4: 8652FF52 00FFFFFF
	s_cmp_lt_u32 s82, s66                                      // 0000000093DC: BF0A4252
	s_cselect_b32 s21, s36, s60                                // 0000000093E0: 85153C24
	s_mov_b64 exec, s[20:21]                                   // 0000000093E4: BEFE0114
	global_atomic_add_f32 v6, v173, s[8:9]                     // 0000000093E8: DD348000 0008AD06
	global_atomic_add_f32 v6, v177, s[8:9] offset:256          // 0000000093F0: DD348100 0008B106
	s_mov_b64 exec, s[36:37]                                   // 0000000093F8: BEFE0124
	v_mov_b32_e32 v6, v70                                      // 0000000093FC: 7E0C0346
	s_mov_b64 s[60:61], 0                                      // 000000009400: BEBC0180
	v_readlane_b32 s82, v3, 24                                 // 000000009404: D2890052 00013103
	s_and_b32 s82, s82, 0xffffff                               // 00000000940C: 8652FF52 00FFFFFF
	s_cmp_lt_u32 s82, s66                                      // 000000009414: BF0A4252
	s_cselect_b32 s20, s36, s60                                // 000000009418: 85143C24
	v_readlane_b32 s82, v3, 25                                 // 00000000941C: D2890052 00013303
	s_and_b32 s82, s82, 0xffffff                               // 000000009424: 8652FF52 00FFFFFF
	s_cmp_lt_u32 s82, s66                                      // 00000000942C: BF0A4252
	s_cselect_b32 s21, s36, s60                                // 000000009430: 85153C24
	s_mov_b64 exec, s[20:21]                                   // 000000009434: BEFE0114
	global_atomic_add_f32 v6, v180, s[8:9]                     // 000000009438: DD348000 0008B406
	global_atomic_add_f32 v6, v184, s[8:9] offset:256          // 000000009440: DD348100 0008B806
	s_mov_b64 exec, s[36:37]                                   // 000000009448: BEFE0124
	v_mov_b32_e32 v6, v71                                      // 00000000944C: 7E0C0347
	s_mov_b64 s[60:61], 0                                      // 000000009450: BEBC0180
	v_readlane_b32 s82, v3, 26                                 // 000000009454: D2890052 00013503
	s_and_b32 s82, s82, 0xffffff                               // 00000000945C: 8652FF52 00FFFFFF
	s_cmp_lt_u32 s82, s66                                      // 000000009464: BF0A4252
	s_cselect_b32 s20, s36, s60                                // 000000009468: 85143C24
	v_readlane_b32 s82, v3, 27                                 // 00000000946C: D2890052 00013703
	s_and_b32 s82, s82, 0xffffff                               // 000000009474: 8652FF52 00FFFFFF
	s_cmp_lt_u32 s82, s66                                      // 00000000947C: BF0A4252
	s_cselect_b32 s21, s36, s60                                // 000000009480: 85153C24
	s_mov_b64 exec, s[20:21]                                   // 000000009484: BEFE0114
	global_atomic_add_f32 v6, v181, s[8:9]                     // 000000009488: DD348000 0008B506
	global_atomic_add_f32 v6, v185, s[8:9] offset:256          // 000000009490: DD348100 0008B906
	s_mov_b64 exec, s[36:37]                                   // 000000009498: BEFE0124
	ds_write_b64 v20, v[134:135]                               // 00000000949C: D89A0000 00008614
	ds_write_b64 v20, v[138:139] offset:4352                   // 0000000094A4: D89A1100 00008A14
	ds_write_b64 v20, v[142:143] offset:8704                   // 0000000094AC: D89A2200 00008E14
	ds_write_b64 v20, v[146:147] offset:13056                  // 0000000094B4: D89A3300 00009214
	ds_write_b64 v20, v[150:151] offset:17408                  // 0000000094BC: D89A4400 00009614
	ds_write_b64 v20, v[154:155] offset:21760                  // 0000000094C4: D89A5500 00009A14
	ds_write_b64 v20, v[158:159] offset:26112                  // 0000000094CC: D89A6600 00009E14
	ds_write_b64 v20, v[162:163] offset:2176                   // 0000000094D4: D89A0880 0000A214
	ds_write_b64 v20, v[166:167] offset:6528                   // 0000000094DC: D89A1980 0000A614
	ds_write_b64 v20, v[170:171] offset:10880                  // 0000000094E4: D89A2A80 0000AA14
	ds_write_b64 v20, v[174:175] offset:15232                  // 0000000094EC: D89A3B80 0000AE14
	ds_write_b64 v20, v[178:179] offset:19584                  // 0000000094F4: D89A4C80 0000B214
	ds_write_b64 v20, v[182:183] offset:23936                  // 0000000094FC: D89A5D80 0000B614
	ds_write_b64 v20, v[186:187] offset:28288                  // 000000009504: D89A6E80 0000BA14
	s_waitcnt lgkmcnt(0)                                       // 00000000950C: BF8CC07F
	s_barrier                                                  // 000000009510: BF8A0000
	ds_read_b32 v134, v21                                      // 000000009514: D86C0000 86000015
	ds_read_b32 v135, v21 offset:64                            // 00000000951C: D86C0040 87000015
	ds_read_b32 v138, v21 offset:2176                          // 000000009524: D86C0880 8A000015
	ds_read_b32 v139, v21 offset:2240                          // 00000000952C: D86C08C0 8B000015
	ds_read_b32 v142, v21 offset:4352                          // 000000009534: D86C1100 8E000015
	ds_read_b32 v143, v21 offset:4416                          // 00000000953C: D86C1140 8F000015
	ds_read_b32 v146, v21 offset:6528                          // 000000009544: D86C1980 92000015
	ds_read_b32 v147, v21 offset:6592                          // 00000000954C: D86C19C0 93000015
	ds_read_b32 v150, v21 offset:8704                          // 000000009554: D86C2200 96000015
	ds_read_b32 v151, v21 offset:8768                          // 00000000955C: D86C2240 97000015
	ds_read_b32 v154, v21 offset:10880                         // 000000009564: D86C2A80 9A000015
	ds_read_b32 v155, v21 offset:10944                         // 00000000956C: D86C2AC0 9B000015
	ds_read_b32 v158, v21 offset:13056                         // 000000009574: D86C3300 9E000015
	ds_read_b32 v159, v21 offset:13120                         // 00000000957C: D86C3340 9F000015
	ds_read_b32 v162, v21 offset:15232                         // 000000009584: D86C3B80 A2000015
	ds_read_b32 v163, v21 offset:15296                         // 00000000958C: D86C3BC0 A3000015
	ds_read_b32 v166, v21 offset:17408                         // 000000009594: D86C4400 A6000015
	ds_read_b32 v167, v21 offset:17472                         // 00000000959C: D86C4440 A7000015
	ds_read_b32 v170, v21 offset:19584                         // 0000000095A4: D86C4C80 AA000015
	ds_read_b32 v171, v21 offset:19648                         // 0000000095AC: D86C4CC0 AB000015
	ds_read_b32 v174, v21 offset:21760                         // 0000000095B4: D86C5500 AE000015
	ds_read_b32 v175, v21 offset:21824                         // 0000000095BC: D86C5540 AF000015
	ds_read_b32 v178, v21 offset:23936                         // 0000000095C4: D86C5D80 B2000015
	ds_read_b32 v179, v21 offset:24000                         // 0000000095CC: D86C5DC0 B3000015
	ds_read_b32 v182, v21 offset:26112                         // 0000000095D4: D86C6600 B6000015
	ds_read_b32 v183, v21 offset:26176                         // 0000000095DC: D86C6640 B7000015
	ds_read_b32 v186, v21 offset:28288                         // 0000000095E4: D86C6E80 BA000015
	ds_read_b32 v187, v21 offset:28352                         // 0000000095EC: D86C6EC0 BB000015
	s_waitcnt lgkmcnt(0)                                       // 0000000095F4: BF8CC07F
	v_mov_b32_e32 v7, 0                                        // 0000000095F8: 7E0E0280
	s_mov_b64 exec, s[36:37]                                   // 0000000095FC: BEFE0124
	v_mov_b32_e32 v6, v58                                      // 000000009600: 7E0C033A
	s_mov_b64 s[60:61], 0                                      // 000000009604: BEBC0180
	v_readlane_b32 s82, v3, 0                                  // 000000009608: D2890052 00010103
	s_and_b32 s82, s82, 0xffffff                               // 000000009610: 8652FF52 00FFFFFF
	s_cmp_lt_u32 s82, s66                                      // 000000009618: BF0A4252
	s_cselect_b32 s20, s36, s60                                // 00000000961C: 85143C24
	v_readlane_b32 s82, v3, 1                                  // 000000009620: D2890052 00010303
	s_and_b32 s82, s82, 0xffffff                               // 000000009628: 8652FF52 00FFFFFF
	s_cmp_lt_u32 s82, s66                                      // 000000009630: BF0A4252
	s_cselect_b32 s21, s36, s60                                // 000000009634: 85153C24
	s_mov_b64 exec, s[20:21]                                   // 000000009638: BEFE0114
	global_atomic_add_f32 v6, v134, s[8:9] offset:8            // 00000000963C: DD348008 00088606
	global_atomic_add_f32 v6, v138, s[8:9] offset:264          // 000000009644: DD348108 00088A06
	s_mov_b64 exec, s[36:37]                                   // 00000000964C: BEFE0124
	v_mov_b32_e32 v6, v59                                      // 000000009650: 7E0C033B
	s_mov_b64 s[60:61], 0                                      // 000000009654: BEBC0180
	v_readlane_b32 s82, v3, 2                                  // 000000009658: D2890052 00010503
	s_and_b32 s82, s82, 0xffffff                               // 000000009660: 8652FF52 00FFFFFF
	s_cmp_lt_u32 s82, s66                                      // 000000009668: BF0A4252
	s_cselect_b32 s20, s36, s60                                // 00000000966C: 85143C24
	v_readlane_b32 s82, v3, 3                                  // 000000009670: D2890052 00010703
	s_and_b32 s82, s82, 0xffffff                               // 000000009678: 8652FF52 00FFFFFF
	s_cmp_lt_u32 s82, s66                                      // 000000009680: BF0A4252
	s_cselect_b32 s21, s36, s60                                // 000000009684: 85153C24
	s_mov_b64 exec, s[20:21]                                   // 000000009688: BEFE0114
	global_atomic_add_f32 v6, v135, s[8:9] offset:8            // 00000000968C: DD348008 00088706
	global_atomic_add_f32 v6, v139, s[8:9] offset:264          // 000000009694: DD348108 00088B06
	s_mov_b64 exec, s[36:37]                                   // 00000000969C: BEFE0124
	v_mov_b32_e32 v6, v60                                      // 0000000096A0: 7E0C033C
	s_mov_b64 s[60:61], 0                                      // 0000000096A4: BEBC0180
	v_readlane_b32 s82, v3, 4                                  // 0000000096A8: D2890052 00010903
	s_and_b32 s82, s82, 0xffffff                               // 0000000096B0: 8652FF52 00FFFFFF
	s_cmp_lt_u32 s82, s66                                      // 0000000096B8: BF0A4252
	s_cselect_b32 s20, s36, s60                                // 0000000096BC: 85143C24
	v_readlane_b32 s82, v3, 5                                  // 0000000096C0: D2890052 00010B03
	s_and_b32 s82, s82, 0xffffff                               // 0000000096C8: 8652FF52 00FFFFFF
	s_cmp_lt_u32 s82, s66                                      // 0000000096D0: BF0A4252
	s_cselect_b32 s21, s36, s60                                // 0000000096D4: 85153C24
	s_mov_b64 exec, s[20:21]                                   // 0000000096D8: BEFE0114
	global_atomic_add_f32 v6, v142, s[8:9] offset:8            // 0000000096DC: DD348008 00088E06
	global_atomic_add_f32 v6, v146, s[8:9] offset:264          // 0000000096E4: DD348108 00089206
	s_mov_b64 exec, s[36:37]                                   // 0000000096EC: BEFE0124
	v_mov_b32_e32 v6, v61                                      // 0000000096F0: 7E0C033D
	s_mov_b64 s[60:61], 0                                      // 0000000096F4: BEBC0180
	v_readlane_b32 s82, v3, 6                                  // 0000000096F8: D2890052 00010D03
	s_and_b32 s82, s82, 0xffffff                               // 000000009700: 8652FF52 00FFFFFF
	s_cmp_lt_u32 s82, s66                                      // 000000009708: BF0A4252
	s_cselect_b32 s20, s36, s60                                // 00000000970C: 85143C24
	v_readlane_b32 s82, v3, 7                                  // 000000009710: D2890052 00010F03
	s_and_b32 s82, s82, 0xffffff                               // 000000009718: 8652FF52 00FFFFFF
	s_cmp_lt_u32 s82, s66                                      // 000000009720: BF0A4252
	s_cselect_b32 s21, s36, s60                                // 000000009724: 85153C24
	s_mov_b64 exec, s[20:21]                                   // 000000009728: BEFE0114
	global_atomic_add_f32 v6, v143, s[8:9] offset:8            // 00000000972C: DD348008 00088F06
	global_atomic_add_f32 v6, v147, s[8:9] offset:264          // 000000009734: DD348108 00089306
	s_mov_b64 exec, s[36:37]                                   // 00000000973C: BEFE0124
	v_mov_b32_e32 v6, v62                                      // 000000009740: 7E0C033E
	s_mov_b64 s[60:61], 0                                      // 000000009744: BEBC0180
	v_readlane_b32 s82, v3, 8                                  // 000000009748: D2890052 00011103
	s_and_b32 s82, s82, 0xffffff                               // 000000009750: 8652FF52 00FFFFFF
	s_cmp_lt_u32 s82, s66                                      // 000000009758: BF0A4252
	s_cselect_b32 s20, s36, s60                                // 00000000975C: 85143C24
	v_readlane_b32 s82, v3, 9                                  // 000000009760: D2890052 00011303
	s_and_b32 s82, s82, 0xffffff                               // 000000009768: 8652FF52 00FFFFFF
	s_cmp_lt_u32 s82, s66                                      // 000000009770: BF0A4252
	s_cselect_b32 s21, s36, s60                                // 000000009774: 85153C24
	s_mov_b64 exec, s[20:21]                                   // 000000009778: BEFE0114
	global_atomic_add_f32 v6, v150, s[8:9] offset:8            // 00000000977C: DD348008 00089606
	global_atomic_add_f32 v6, v154, s[8:9] offset:264          // 000000009784: DD348108 00089A06
	s_mov_b64 exec, s[36:37]                                   // 00000000978C: BEFE0124
	v_mov_b32_e32 v6, v63                                      // 000000009790: 7E0C033F
	s_mov_b64 s[60:61], 0                                      // 000000009794: BEBC0180
	v_readlane_b32 s82, v3, 10                                 // 000000009798: D2890052 00011503
	s_and_b32 s82, s82, 0xffffff                               // 0000000097A0: 8652FF52 00FFFFFF
	s_cmp_lt_u32 s82, s66                                      // 0000000097A8: BF0A4252
	s_cselect_b32 s20, s36, s60                                // 0000000097AC: 85143C24
	v_readlane_b32 s82, v3, 11                                 // 0000000097B0: D2890052 00011703
	s_and_b32 s82, s82, 0xffffff                               // 0000000097B8: 8652FF52 00FFFFFF
	s_cmp_lt_u32 s82, s66                                      // 0000000097C0: BF0A4252
	s_cselect_b32 s21, s36, s60                                // 0000000097C4: 85153C24
	s_mov_b64 exec, s[20:21]                                   // 0000000097C8: BEFE0114
	global_atomic_add_f32 v6, v151, s[8:9] offset:8            // 0000000097CC: DD348008 00089706
	global_atomic_add_f32 v6, v155, s[8:9] offset:264          // 0000000097D4: DD348108 00089B06
	s_mov_b64 exec, s[36:37]                                   // 0000000097DC: BEFE0124
	v_mov_b32_e32 v6, v64                                      // 0000000097E0: 7E0C0340
	s_mov_b64 s[60:61], 0                                      // 0000000097E4: BEBC0180
	v_readlane_b32 s82, v3, 12                                 // 0000000097E8: D2890052 00011903
	s_and_b32 s82, s82, 0xffffff                               // 0000000097F0: 8652FF52 00FFFFFF
	s_cmp_lt_u32 s82, s66                                      // 0000000097F8: BF0A4252
	s_cselect_b32 s20, s36, s60                                // 0000000097FC: 85143C24
	v_readlane_b32 s82, v3, 13                                 // 000000009800: D2890052 00011B03
	s_and_b32 s82, s82, 0xffffff                               // 000000009808: 8652FF52 00FFFFFF
	s_cmp_lt_u32 s82, s66                                      // 000000009810: BF0A4252
	s_cselect_b32 s21, s36, s60                                // 000000009814: 85153C24
	s_mov_b64 exec, s[20:21]                                   // 000000009818: BEFE0114
	global_atomic_add_f32 v6, v158, s[8:9] offset:8            // 00000000981C: DD348008 00089E06
	global_atomic_add_f32 v6, v162, s[8:9] offset:264          // 000000009824: DD348108 0008A206
	s_mov_b64 exec, s[36:37]                                   // 00000000982C: BEFE0124
	v_mov_b32_e32 v6, v65                                      // 000000009830: 7E0C0341
	s_mov_b64 s[60:61], 0                                      // 000000009834: BEBC0180
	v_readlane_b32 s82, v3, 14                                 // 000000009838: D2890052 00011D03
	s_and_b32 s82, s82, 0xffffff                               // 000000009840: 8652FF52 00FFFFFF
	s_cmp_lt_u32 s82, s66                                      // 000000009848: BF0A4252
	s_cselect_b32 s20, s36, s60                                // 00000000984C: 85143C24
	v_readlane_b32 s82, v3, 15                                 // 000000009850: D2890052 00011F03
	s_and_b32 s82, s82, 0xffffff                               // 000000009858: 8652FF52 00FFFFFF
	s_cmp_lt_u32 s82, s66                                      // 000000009860: BF0A4252
	s_cselect_b32 s21, s36, s60                                // 000000009864: 85153C24
	s_mov_b64 exec, s[20:21]                                   // 000000009868: BEFE0114
	global_atomic_add_f32 v6, v159, s[8:9] offset:8            // 00000000986C: DD348008 00089F06
	global_atomic_add_f32 v6, v163, s[8:9] offset:264          // 000000009874: DD348108 0008A306
	s_mov_b64 exec, s[36:37]                                   // 00000000987C: BEFE0124
	v_mov_b32_e32 v6, v66                                      // 000000009880: 7E0C0342
	s_mov_b64 s[60:61], 0                                      // 000000009884: BEBC0180
	v_readlane_b32 s82, v3, 16                                 // 000000009888: D2890052 00012103
	s_and_b32 s82, s82, 0xffffff                               // 000000009890: 8652FF52 00FFFFFF
	s_cmp_lt_u32 s82, s66                                      // 000000009898: BF0A4252
	s_cselect_b32 s20, s36, s60                                // 00000000989C: 85143C24
	v_readlane_b32 s82, v3, 17                                 // 0000000098A0: D2890052 00012303
	s_and_b32 s82, s82, 0xffffff                               // 0000000098A8: 8652FF52 00FFFFFF
	s_cmp_lt_u32 s82, s66                                      // 0000000098B0: BF0A4252
	s_cselect_b32 s21, s36, s60                                // 0000000098B4: 85153C24
	s_mov_b64 exec, s[20:21]                                   // 0000000098B8: BEFE0114
	global_atomic_add_f32 v6, v166, s[8:9] offset:8            // 0000000098BC: DD348008 0008A606
	global_atomic_add_f32 v6, v170, s[8:9] offset:264          // 0000000098C4: DD348108 0008AA06
	s_mov_b64 exec, s[36:37]                                   // 0000000098CC: BEFE0124
	v_mov_b32_e32 v6, v67                                      // 0000000098D0: 7E0C0343
	s_mov_b64 s[60:61], 0                                      // 0000000098D4: BEBC0180
	v_readlane_b32 s82, v3, 18                                 // 0000000098D8: D2890052 00012503
	s_and_b32 s82, s82, 0xffffff                               // 0000000098E0: 8652FF52 00FFFFFF
	s_cmp_lt_u32 s82, s66                                      // 0000000098E8: BF0A4252
	s_cselect_b32 s20, s36, s60                                // 0000000098EC: 85143C24
	v_readlane_b32 s82, v3, 19                                 // 0000000098F0: D2890052 00012703
	s_and_b32 s82, s82, 0xffffff                               // 0000000098F8: 8652FF52 00FFFFFF
	s_cmp_lt_u32 s82, s66                                      // 000000009900: BF0A4252
	s_cselect_b32 s21, s36, s60                                // 000000009904: 85153C24
	s_mov_b64 exec, s[20:21]                                   // 000000009908: BEFE0114
	global_atomic_add_f32 v6, v167, s[8:9] offset:8            // 00000000990C: DD348008 0008A706
	global_atomic_add_f32 v6, v171, s[8:9] offset:264          // 000000009914: DD348108 0008AB06
	s_mov_b64 exec, s[36:37]                                   // 00000000991C: BEFE0124
	v_mov_b32_e32 v6, v68                                      // 000000009920: 7E0C0344
	s_mov_b64 s[60:61], 0                                      // 000000009924: BEBC0180
	v_readlane_b32 s82, v3, 20                                 // 000000009928: D2890052 00012903
	s_and_b32 s82, s82, 0xffffff                               // 000000009930: 8652FF52 00FFFFFF
	s_cmp_lt_u32 s82, s66                                      // 000000009938: BF0A4252
	s_cselect_b32 s20, s36, s60                                // 00000000993C: 85143C24
	v_readlane_b32 s82, v3, 21                                 // 000000009940: D2890052 00012B03
	s_and_b32 s82, s82, 0xffffff                               // 000000009948: 8652FF52 00FFFFFF
	s_cmp_lt_u32 s82, s66                                      // 000000009950: BF0A4252
	s_cselect_b32 s21, s36, s60                                // 000000009954: 85153C24
	s_mov_b64 exec, s[20:21]                                   // 000000009958: BEFE0114
	global_atomic_add_f32 v6, v174, s[8:9] offset:8            // 00000000995C: DD348008 0008AE06
	global_atomic_add_f32 v6, v178, s[8:9] offset:264          // 000000009964: DD348108 0008B206
	s_mov_b64 exec, s[36:37]                                   // 00000000996C: BEFE0124
	v_mov_b32_e32 v6, v69                                      // 000000009970: 7E0C0345
	s_mov_b64 s[60:61], 0                                      // 000000009974: BEBC0180
	v_readlane_b32 s82, v3, 22                                 // 000000009978: D2890052 00012D03
	s_and_b32 s82, s82, 0xffffff                               // 000000009980: 8652FF52 00FFFFFF
	s_cmp_lt_u32 s82, s66                                      // 000000009988: BF0A4252
	s_cselect_b32 s20, s36, s60                                // 00000000998C: 85143C24
	v_readlane_b32 s82, v3, 23                                 // 000000009990: D2890052 00012F03
	s_and_b32 s82, s82, 0xffffff                               // 000000009998: 8652FF52 00FFFFFF
	s_cmp_lt_u32 s82, s66                                      // 0000000099A0: BF0A4252
	s_cselect_b32 s21, s36, s60                                // 0000000099A4: 85153C24
	s_mov_b64 exec, s[20:21]                                   // 0000000099A8: BEFE0114
	global_atomic_add_f32 v6, v175, s[8:9] offset:8            // 0000000099AC: DD348008 0008AF06
	global_atomic_add_f32 v6, v179, s[8:9] offset:264          // 0000000099B4: DD348108 0008B306
	s_mov_b64 exec, s[36:37]                                   // 0000000099BC: BEFE0124
	v_mov_b32_e32 v6, v70                                      // 0000000099C0: 7E0C0346
	s_mov_b64 s[60:61], 0                                      // 0000000099C4: BEBC0180
	v_readlane_b32 s82, v3, 24                                 // 0000000099C8: D2890052 00013103
	s_and_b32 s82, s82, 0xffffff                               // 0000000099D0: 8652FF52 00FFFFFF
	s_cmp_lt_u32 s82, s66                                      // 0000000099D8: BF0A4252
	s_cselect_b32 s20, s36, s60                                // 0000000099DC: 85143C24
	v_readlane_b32 s82, v3, 25                                 // 0000000099E0: D2890052 00013303
	s_and_b32 s82, s82, 0xffffff                               // 0000000099E8: 8652FF52 00FFFFFF
	s_cmp_lt_u32 s82, s66                                      // 0000000099F0: BF0A4252
	s_cselect_b32 s21, s36, s60                                // 0000000099F4: 85153C24
	s_mov_b64 exec, s[20:21]                                   // 0000000099F8: BEFE0114
	global_atomic_add_f32 v6, v182, s[8:9] offset:8            // 0000000099FC: DD348008 0008B606
	global_atomic_add_f32 v6, v186, s[8:9] offset:264          // 000000009A04: DD348108 0008BA06
	s_mov_b64 exec, s[36:37]                                   // 000000009A0C: BEFE0124
	v_mov_b32_e32 v6, v71                                      // 000000009A10: 7E0C0347
	s_mov_b64 s[60:61], 0                                      // 000000009A14: BEBC0180
	v_readlane_b32 s82, v3, 26                                 // 000000009A18: D2890052 00013503
	s_and_b32 s82, s82, 0xffffff                               // 000000009A20: 8652FF52 00FFFFFF
	s_cmp_lt_u32 s82, s66                                      // 000000009A28: BF0A4252
	s_cselect_b32 s20, s36, s60                                // 000000009A2C: 85143C24
	v_readlane_b32 s82, v3, 27                                 // 000000009A30: D2890052 00013703
	s_and_b32 s82, s82, 0xffffff                               // 000000009A38: 8652FF52 00FFFFFF
	s_cmp_lt_u32 s82, s66                                      // 000000009A40: BF0A4252
	s_cselect_b32 s21, s36, s60                                // 000000009A44: 85153C24
	s_mov_b64 exec, s[20:21]                                   // 000000009A48: BEFE0114
	global_atomic_add_f32 v6, v183, s[8:9] offset:8            // 000000009A4C: DD348008 0008B706
	global_atomic_add_f32 v6, v187, s[8:9] offset:264          // 000000009A54: DD348108 0008BB06
	s_mov_b64 exec, s[36:37]                                   // 000000009A5C: BEFE0124
	s_branch label_34E6                                        // 000000009A60: BF8218CA

0000000000009a64 <label_1C1C>:
	s_waitcnt vmcnt(18) lgkmcnt(0)                             // 000000009A64: BF8C4072
	v_mfma_f32_16x16x32_fp8_fp8 v[76:79], a[112:113], a[0:1], v[76:79]// 000000009A68: D3F3004C 1D320170
	buffer_load_dwordx4 a[144:147], v72, s[24:27], 0 offen     // 000000009A70: E05C1000 80869048
	v_mfma_f32_16x16x32_fp8_fp8 v[76:79], a[114:115], a[2:3], v[76:79]// 000000009A78: D3F3004C 1D320572
	v_mfma_f32_16x16x32_fp8_fp8 v[76:79], a[116:117], a[4:5], v[76:79]// 000000009A80: D3F3004C 1D320974
	v_mfma_f32_16x16x32_fp8_fp8 v[76:79], a[118:119], a[6:7], v[76:79]// 000000009A88: D3F3004C 1D320D76
	v_mfma_f32_16x16x32_fp8_fp8 v[104:107], a[120:121], a[0:1], v[104:107]// 000000009A90: D3F30068 1DA20178
	buffer_load_dwordx4 a[148:151], v72, s[24:27], 0 offen offset:1024// 000000009A98: E05C1400 80869448
	v_mfma_f32_16x16x32_fp8_fp8 v[104:107], a[122:123], a[2:3], v[104:107]// 000000009AA0: D3F30068 1DA2057A
	v_mfma_f32_16x16x32_fp8_fp8 v[104:107], a[124:125], a[4:5], v[104:107]// 000000009AA8: D3F30068 1DA2097C
	v_mfma_f32_16x16x32_fp8_fp8 v[104:107], a[126:127], a[6:7], v[104:107]// 000000009AB0: D3F30068 1DA20D7E
	v_mfma_f32_16x16x32_fp8_fp8 v[80:83], a[112:113], a[8:9], v[80:83]// 000000009AB8: D3F30050 1D421170
	buffer_load_dwordx4 a[152:155], v73, s[24:27], 0 offen     // 000000009AC0: E05C1000 80869849
	v_mfma_f32_16x16x32_fp8_fp8 v[80:83], a[114:115], a[10:11], v[80:83]// 000000009AC8: D3F30050 1D421572
	v_mfma_f32_16x16x32_fp8_fp8 v[80:83], a[116:117], a[12:13], v[80:83]// 000000009AD0: D3F30050 1D421974
	v_mfma_f32_16x16x32_fp8_fp8 v[80:83], a[118:119], a[14:15], v[80:83]// 000000009AD8: D3F30050 1D421D76
	v_mfma_f32_16x16x32_fp8_fp8 v[108:111], a[120:121], a[8:9], v[108:111]// 000000009AE0: D3F3006C 1DB21178
	buffer_load_dwordx4 a[156:159], v73, s[24:27], 0 offen offset:1024// 000000009AE8: E05C1400 80869C49
	buffer_load_dword v58, s[20:23], 0 offen lds               // 000000009AF0: E0511000 8005003A
	s_add_u32 m0, 0x100, s50                                   // 000000009AF8: 807C32FF 00000100
	v_mfma_f32_16x16x32_fp8_fp8 v[108:111], a[122:123], a[10:11], v[108:111]// 000000009B00: D3F3006C 1DB2157A
	v_mfma_f32_16x16x32_fp8_fp8 v[108:111], a[124:125], a[12:13], v[108:111]// 000000009B08: D3F3006C 1DB2197C
	buffer_load_dword v59, s[20:23], 0 offen lds               // 000000009B10: E0511000 8005003B
	s_add_u32 m0, 0x200, s50                                   // 000000009B18: 807C32FF 00000200
	v_mfma_f32_16x16x32_fp8_fp8 v[108:111], a[126:127], a[14:15], v[108:111]// 000000009B20: D3F3006C 1DB21D7E
	v_mfma_f32_16x16x32_fp8_fp8 v[84:87], a[112:113], a[16:17], v[84:87]// 000000009B28: D3F30054 1D522170
	buffer_load_dword v60, s[20:23], 0 offen lds               // 000000009B30: E0511000 8005003C
	s_add_u32 m0, 0x300, s50                                   // 000000009B38: 807C32FF 00000300
	v_mfma_f32_16x16x32_fp8_fp8 v[84:87], a[114:115], a[18:19], v[84:87]// 000000009B40: D3F30054 1D522572
	v_mfma_f32_16x16x32_fp8_fp8 v[84:87], a[116:117], a[20:21], v[84:87]// 000000009B48: D3F30054 1D522974
	buffer_load_dword v61, s[20:23], 0 offen lds               // 000000009B50: E0511000 8005003D
	s_add_u32 m0, 0x400, s50                                   // 000000009B58: 807C32FF 00000400
	v_mfma_f32_16x16x32_fp8_fp8 v[84:87], a[118:119], a[22:23], v[84:87]// 000000009B60: D3F30054 1D522D76
	v_mfma_f32_16x16x32_fp8_fp8 v[112:115], a[120:121], a[16:17], v[112:115]// 000000009B68: D3F30070 1DC22178
	buffer_load_dword v62, s[20:23], 0 offen lds               // 000000009B70: E0511000 8005003E
	s_add_u32 m0, 0x500, s50                                   // 000000009B78: 807C32FF 00000500
	v_mfma_f32_16x16x32_fp8_fp8 v[112:115], a[122:123], a[18:19], v[112:115]// 000000009B80: D3F30070 1DC2257A
	v_mfma_f32_16x16x32_fp8_fp8 v[112:115], a[124:125], a[20:21], v[112:115]// 000000009B88: D3F30070 1DC2297C
	buffer_load_dword v63, s[20:23], 0 offen lds               // 000000009B90: E0511000 8005003F
	s_add_u32 m0, 0x600, s50                                   // 000000009B98: 807C32FF 00000600
	v_mfma_f32_16x16x32_fp8_fp8 v[112:115], a[126:127], a[22:23], v[112:115]// 000000009BA0: D3F30070 1DC22D7E
	v_mfma_f32_16x16x32_fp8_fp8 v[88:91], a[112:113], a[24:25], v[88:91]// 000000009BA8: D3F30058 1D623170
	buffer_load_dword v64, s[20:23], 0 offen lds               // 000000009BB0: E0511000 80050040
	s_add_u32 m0, 0x700, s50                                   // 000000009BB8: 807C32FF 00000700
	v_mfma_f32_16x16x32_fp8_fp8 v[88:91], a[114:115], a[26:27], v[88:91]// 000000009BC0: D3F30058 1D623572
	v_mfma_f32_16x16x32_fp8_fp8 v[88:91], a[116:117], a[28:29], v[88:91]// 000000009BC8: D3F30058 1D623974
	buffer_load_dword v65, s[20:23], 0 offen lds               // 000000009BD0: E0511000 80050041
	s_add_u32 m0, 0x800, s50                                   // 000000009BD8: 807C32FF 00000800
	v_mfma_f32_16x16x32_fp8_fp8 v[88:91], a[118:119], a[30:31], v[88:91]// 000000009BE0: D3F30058 1D623D76
	v_mfma_f32_16x16x32_fp8_fp8 v[116:119], a[120:121], a[24:25], v[116:119]// 000000009BE8: D3F30074 1DD23178
	buffer_load_dword v66, s[20:23], 0 offen lds               // 000000009BF0: E0511000 80050042
	s_add_u32 m0, 0x900, s50                                   // 000000009BF8: 807C32FF 00000900
	v_mfma_f32_16x16x32_fp8_fp8 v[116:119], a[122:123], a[26:27], v[116:119]// 000000009C00: D3F30074 1DD2357A
	v_mfma_f32_16x16x32_fp8_fp8 v[116:119], a[124:125], a[28:29], v[116:119]// 000000009C08: D3F30074 1DD2397C
	buffer_load_dword v67, s[20:23], 0 offen lds               // 000000009C10: E0511000 80050043
	s_add_u32 m0, 0xa00, s50                                   // 000000009C18: 807C32FF 00000A00
	v_mfma_f32_16x16x32_fp8_fp8 v[116:119], a[126:127], a[30:31], v[116:119]// 000000009C20: D3F30074 1DD23D7E
	v_mfma_f32_16x16x32_fp8_fp8 v[92:95], a[112:113], a[32:33], v[92:95]// 000000009C28: D3F3005C 1D724170
	buffer_load_dword v68, s[20:23], 0 offen lds               // 000000009C30: E0511000 80050044
	s_add_u32 m0, 0xb00, s50                                   // 000000009C38: 807C32FF 00000B00
	v_mfma_f32_16x16x32_fp8_fp8 v[92:95], a[114:115], a[34:35], v[92:95]// 000000009C40: D3F3005C 1D724572
	v_mfma_f32_16x16x32_fp8_fp8 v[92:95], a[116:117], a[36:37], v[92:95]// 000000009C48: D3F3005C 1D724974
	buffer_load_dword v69, s[20:23], 0 offen lds               // 000000009C50: E0511000 80050045
	s_add_u32 m0, 0xc00, s50                                   // 000000009C58: 807C32FF 00000C00
	v_mfma_f32_16x16x32_fp8_fp8 v[92:95], a[118:119], a[38:39], v[92:95]// 000000009C60: D3F3005C 1D724D76
	v_mfma_f32_16x16x32_fp8_fp8 v[120:123], a[120:121], a[32:33], v[120:123]// 000000009C68: D3F30078 1DE24178
	buffer_load_dword v70, s[20:23], 0 offen lds               // 000000009C70: E0511000 80050046
	s_add_u32 m0, 0xd00, s50                                   // 000000009C78: 807C32FF 00000D00
	v_mfma_f32_16x16x32_fp8_fp8 v[120:123], a[122:123], a[34:35], v[120:123]// 000000009C80: D3F30078 1DE2457A
	v_mfma_f32_16x16x32_fp8_fp8 v[120:123], a[124:125], a[36:37], v[120:123]// 000000009C88: D3F30078 1DE2497C
	buffer_load_dword v71, s[20:23], 0 offen lds               // 000000009C90: E0511000 80050047
	s_add_u32 m0, 0, s48                                       // 000000009C98: 807C3080
	v_mfma_f32_16x16x32_fp8_fp8 v[120:123], a[126:127], a[38:39], v[120:123]// 000000009C9C: D3F30078 1DE24D7E
	v_mfma_f32_16x16x32_fp8_fp8 v[96:99], a[112:113], a[40:41], v[96:99]// 000000009CA4: D3F30060 1D825170
	v_mfma_f32_16x16x32_fp8_fp8 v[96:99], a[114:115], a[42:43], v[96:99]// 000000009CAC: D3F30060 1D825572
	v_mfma_f32_16x16x32_fp8_fp8 v[96:99], a[116:117], a[44:45], v[96:99]// 000000009CB4: D3F30060 1D825974
	v_mfma_f32_16x16x32_fp8_fp8 v[96:99], a[118:119], a[46:47], v[96:99]// 000000009CBC: D3F30060 1D825D76
	v_mfma_f32_16x16x32_fp8_fp8 v[124:127], a[120:121], a[40:41], v[124:127]// 000000009CC4: D3F3007C 1DF25178
	v_mfma_f32_16x16x32_fp8_fp8 v[124:127], a[122:123], a[42:43], v[124:127]// 000000009CCC: D3F3007C 1DF2557A
	v_mfma_f32_16x16x32_fp8_fp8 v[124:127], a[124:125], a[44:45], v[124:127]// 000000009CD4: D3F3007C 1DF2597C
	v_mfma_f32_16x16x32_fp8_fp8 v[124:127], a[126:127], a[46:47], v[124:127]// 000000009CDC: D3F3007C 1DF25D7E
	v_mfma_f32_16x16x32_fp8_fp8 v[100:103], a[112:113], a[48:49], v[100:103]// 000000009CE4: D3F30064 1D926170
	v_mfma_f32_16x16x32_fp8_fp8 v[100:103], a[114:115], a[50:51], v[100:103]// 000000009CEC: D3F30064 1D926572
	v_mfma_f32_16x16x32_fp8_fp8 v[100:103], a[116:117], a[52:53], v[100:103]// 000000009CF4: D3F30064 1D926974
	v_mfma_f32_16x16x32_fp8_fp8 v[100:103], a[118:119], a[54:55], v[100:103]// 000000009CFC: D3F30064 1D926D76
	v_mfma_f32_16x16x32_fp8_fp8 v[128:131], a[120:121], a[48:49], v[128:131]// 000000009D04: D3F30080 1E026178
	v_mfma_f32_16x16x32_fp8_fp8 v[128:131], a[122:123], a[50:51], v[128:131]// 000000009D0C: D3F30080 1E02657A
	v_mfma_f32_16x16x32_fp8_fp8 v[128:131], a[124:125], a[52:53], v[128:131]// 000000009D14: D3F30080 1E02697C
	v_mfma_f32_16x16x32_fp8_fp8 v[128:131], a[126:127], a[54:55], v[128:131]// 000000009D1C: D3F30080 1E026D7E
	s_waitcnt vmcnt(18)                                        // 000000009D24: BF8C4F72
	s_barrier                                                  // 000000009D28: BF8A0000
	v_mfma_f32_16x16x32_fp8_fp8 v[132:135], a[128:129], a[0:1], v[132:135]// 000000009D2C: D3F30084 1E120180
	buffer_load_dwordx4 a[112:115], v72, s[84:87], 0 offen     // 000000009D34: E05C1000 80957048
	v_mfma_f32_16x16x32_fp8_fp8 v[132:135], a[130:131], a[2:3], v[132:135]// 000000009D3C: D3F30084 1E120582
	v_mfma_f32_16x16x32_fp8_fp8 v[132:135], a[132:133], a[4:5], v[132:135]// 000000009D44: D3F30084 1E120984
	ds_read_b128 a[56:59], v2 offset:14464                     // 000000009D4C: DBFE3880 38000002
	ds_read_b128 a[60:63], v2 offset:14528                     // 000000009D54: DBFE38C0 3C000002
	v_mfma_f32_16x16x32_fp8_fp8 v[132:135], a[134:135], a[6:7], v[132:135]// 000000009D5C: D3F30084 1E120D86
	v_mfma_f32_16x16x32_fp8_fp8 v[160:163], a[136:137], a[0:1], v[160:163]// 000000009D64: D3F300A0 1E820188
	buffer_load_dwordx4 a[116:119], v72, s[84:87], 0 offen offset:1024// 000000009D6C: E05C1400 80957448
	v_mfma_f32_16x16x32_fp8_fp8 v[160:163], a[138:139], a[2:3], v[160:163]// 000000009D74: D3F300A0 1E82058A
	v_mfma_f32_16x16x32_fp8_fp8 v[160:163], a[140:141], a[4:5], v[160:163]// 000000009D7C: D3F300A0 1E82098C
	ds_read_b128 a[64:67], v2 offset:14976                     // 000000009D84: DBFE3A80 40000002
	ds_read_b128 a[68:71], v2 offset:15040                     // 000000009D8C: DBFE3AC0 44000002
	v_mfma_f32_16x16x32_fp8_fp8 v[160:163], a[142:143], a[6:7], v[160:163]// 000000009D94: D3F300A0 1E820D8E
	v_mfma_f32_16x16x32_fp8_fp8 v[136:139], a[128:129], a[8:9], v[136:139]// 000000009D9C: D3F30088 1E221180
	buffer_load_dwordx4 a[120:123], v73, s[84:87], 0 offen     // 000000009DA4: E05C1000 80957849
	v_mfma_f32_16x16x32_fp8_fp8 v[136:139], a[130:131], a[10:11], v[136:139]// 000000009DAC: D3F30088 1E221582
	v_mfma_f32_16x16x32_fp8_fp8 v[136:139], a[132:133], a[12:13], v[136:139]// 000000009DB4: D3F30088 1E221984
	ds_read_b128 a[72:75], v2 offset:15488                     // 000000009DBC: DBFE3C80 48000002
	ds_read_b128 a[76:79], v2 offset:15552                     // 000000009DC4: DBFE3CC0 4C000002
	v_mfma_f32_16x16x32_fp8_fp8 v[136:139], a[134:135], a[14:15], v[136:139]// 000000009DCC: D3F30088 1E221D86
	v_mfma_f32_16x16x32_fp8_fp8 v[164:167], a[136:137], a[8:9], v[164:167]// 000000009DD4: D3F300A4 1E921188
	buffer_load_dwordx4 a[124:127], v73, s[84:87], 0 offen offset:1024// 000000009DDC: E05C1400 80957C49
	v_mfma_f32_16x16x32_fp8_fp8 v[164:167], a[138:139], a[10:11], v[164:167]// 000000009DE4: D3F300A4 1E92158A
	v_mfma_f32_16x16x32_fp8_fp8 v[164:167], a[140:141], a[12:13], v[164:167]// 000000009DEC: D3F300A4 1E92198C
	ds_read_b128 a[80:83], v2 offset:16000                     // 000000009DF4: DBFE3E80 50000002
	ds_read_b128 a[84:87], v2 offset:16064                     // 000000009DFC: DBFE3EC0 54000002
	v_mfma_f32_16x16x32_fp8_fp8 v[164:167], a[142:143], a[14:15], v[164:167]// 000000009E04: D3F300A4 1E921D8E
	v_mfma_f32_16x16x32_fp8_fp8 v[140:143], a[128:129], a[16:17], v[140:143]// 000000009E0C: D3F3008C 1E322180
	v_mfma_f32_16x16x32_fp8_fp8 v[140:143], a[130:131], a[18:19], v[140:143]// 000000009E14: D3F3008C 1E322582
	v_mfma_f32_16x16x32_fp8_fp8 v[140:143], a[132:133], a[20:21], v[140:143]// 000000009E1C: D3F3008C 1E322984
	ds_read_b128 a[88:91], v2 offset:16512                     // 000000009E24: DBFE4080 58000002
	ds_read_b128 a[92:95], v2 offset:16576                     // 000000009E2C: DBFE40C0 5C000002
	v_mfma_f32_16x16x32_fp8_fp8 v[140:143], a[134:135], a[22:23], v[140:143]// 000000009E34: D3F3008C 1E322D86
	v_mfma_f32_16x16x32_fp8_fp8 v[168:171], a[136:137], a[16:17], v[168:171]// 000000009E3C: D3F300A8 1EA22188
	v_mfma_f32_16x16x32_fp8_fp8 v[168:171], a[138:139], a[18:19], v[168:171]// 000000009E44: D3F300A8 1EA2258A
	v_mfma_f32_16x16x32_fp8_fp8 v[168:171], a[140:141], a[20:21], v[168:171]// 000000009E4C: D3F300A8 1EA2298C
	ds_read_b128 a[96:99], v2 offset:17024                     // 000000009E54: DBFE4280 60000002
	ds_read_b128 a[100:103], v2 offset:17088                   // 000000009E5C: DBFE42C0 64000002
	v_mfma_f32_16x16x32_fp8_fp8 v[168:171], a[142:143], a[22:23], v[168:171]// 000000009E64: D3F300A8 1EA22D8E
	v_mfma_f32_16x16x32_fp8_fp8 v[144:147], a[128:129], a[24:25], v[144:147]// 000000009E6C: D3F30090 1E423180
	v_mfma_f32_16x16x32_fp8_fp8 v[144:147], a[130:131], a[26:27], v[144:147]// 000000009E74: D3F30090 1E423582
	v_mfma_f32_16x16x32_fp8_fp8 v[144:147], a[132:133], a[28:29], v[144:147]// 000000009E7C: D3F30090 1E423984
	ds_read_b128 a[104:107], v2 offset:17536                   // 000000009E84: DBFE4480 68000002
	ds_read_b128 a[108:111], v2 offset:17600                   // 000000009E8C: DBFE44C0 6C000002
	v_mfma_f32_16x16x32_fp8_fp8 v[144:147], a[134:135], a[30:31], v[144:147]// 000000009E94: D3F30090 1E423D86
	v_mfma_f32_16x16x32_fp8_fp8 v[172:175], a[136:137], a[24:25], v[172:175]// 000000009E9C: D3F300AC 1EB23188
	v_mfma_f32_16x16x32_fp8_fp8 v[172:175], a[138:139], a[26:27], v[172:175]// 000000009EA4: D3F300AC 1EB2358A
	v_mfma_f32_16x16x32_fp8_fp8 v[172:175], a[140:141], a[28:29], v[172:175]// 000000009EAC: D3F300AC 1EB2398C
	v_mfma_f32_16x16x32_fp8_fp8 v[172:175], a[142:143], a[30:31], v[172:175]// 000000009EB4: D3F300AC 1EB23D8E
	v_mfma_f32_16x16x32_fp8_fp8 v[148:151], a[128:129], a[32:33], v[148:151]// 000000009EBC: D3F30094 1E524180
	v_mfma_f32_16x16x32_fp8_fp8 v[148:151], a[130:131], a[34:35], v[148:151]// 000000009EC4: D3F30094 1E524582
	v_mfma_f32_16x16x32_fp8_fp8 v[148:151], a[132:133], a[36:37], v[148:151]// 000000009ECC: D3F30094 1E524984
	v_mfma_f32_16x16x32_fp8_fp8 v[148:151], a[134:135], a[38:39], v[148:151]// 000000009ED4: D3F30094 1E524D86
	v_mfma_f32_16x16x32_fp8_fp8 v[176:179], a[136:137], a[32:33], v[176:179]// 000000009EDC: D3F300B0 1EC24188
	v_mfma_f32_16x16x32_fp8_fp8 v[176:179], a[138:139], a[34:35], v[176:179]// 000000009EE4: D3F300B0 1EC2458A
	v_mfma_f32_16x16x32_fp8_fp8 v[176:179], a[140:141], a[36:37], v[176:179]// 000000009EEC: D3F300B0 1EC2498C
	v_mfma_f32_16x16x32_fp8_fp8 v[176:179], a[142:143], a[38:39], v[176:179]// 000000009EF4: D3F300B0 1EC24D8E
	v_mfma_f32_16x16x32_fp8_fp8 v[152:155], a[128:129], a[40:41], v[152:155]// 000000009EFC: D3F30098 1E625180
	v_mfma_f32_16x16x32_fp8_fp8 v[152:155], a[130:131], a[42:43], v[152:155]// 000000009F04: D3F30098 1E625582
	v_mfma_f32_16x16x32_fp8_fp8 v[152:155], a[132:133], a[44:45], v[152:155]// 000000009F0C: D3F30098 1E625984
	v_mfma_f32_16x16x32_fp8_fp8 v[152:155], a[134:135], a[46:47], v[152:155]// 000000009F14: D3F30098 1E625D86
	v_mfma_f32_16x16x32_fp8_fp8 v[180:183], a[136:137], a[40:41], v[180:183]// 000000009F1C: D3F300B4 1ED25188
	v_mfma_f32_16x16x32_fp8_fp8 v[180:183], a[138:139], a[42:43], v[180:183]// 000000009F24: D3F300B4 1ED2558A
	v_mfma_f32_16x16x32_fp8_fp8 v[180:183], a[140:141], a[44:45], v[180:183]// 000000009F2C: D3F300B4 1ED2598C
	v_mfma_f32_16x16x32_fp8_fp8 v[180:183], a[142:143], a[46:47], v[180:183]// 000000009F34: D3F300B4 1ED25D8E
	v_mfma_f32_16x16x32_fp8_fp8 v[156:159], a[128:129], a[48:49], v[156:159]// 000000009F3C: D3F3009C 1E726180
	s_add_u32 s60, 0x180, s80                                  // 000000009F44: 803C50FF 00000180
	s_cmp_lt_u32 s60, s81                                      // 000000009F4C: BF0A513C
	s_cselect_b32 s57, s57, 0                                  // 000000009F50: 85398039
	v_mfma_f32_16x16x32_fp8_fp8 v[156:159], a[130:131], a[50:51], v[156:159]// 000000009F54: D3F3009C 1E726582
	s_add_u32 s60, 0x100, s80                                  // 000000009F5C: 803C50FF 00000100
	s_cmp_lt_u32 s60, s81                                      // 000000009F64: BF0A513C
	s_cselect_b32 s58, s58, 0                                  // 000000009F68: 853A803A
	v_mfma_f32_16x16x32_fp8_fp8 v[156:159], a[132:133], a[52:53], v[156:159]// 000000009F6C: D3F3009C 1E726984
	s_add_u32 s60, 0x100, s80                                  // 000000009F74: 803C50FF 00000100
	s_cmp_lt_u32 s60, s81                                      // 000000009F7C: BF0A513C
	s_cselect_b32 s83, s83, 0                                  // 000000009F80: 85538053
	v_mfma_f32_16x16x32_fp8_fp8 v[156:159], a[134:135], a[54:55], v[156:159]// 000000009F84: D3F3009C 1E726D86
	s_add_u32 s24, s58, s24                                    // 000000009F8C: 8018183A
	s_addc_u32 s25, 0, s25                                     // 000000009F90: 82191980
	v_mfma_f32_16x16x32_fp8_fp8 v[184:187], a[136:137], a[48:49], v[184:187]// 000000009F94: D3F300B8 1EE26188
	s_add_u32 s20, s57, s20                                    // 000000009F9C: 80141439
	s_addc_u32 s21, 0, s21                                     // 000000009FA0: 82151580
	v_mfma_f32_16x16x32_fp8_fp8 v[184:187], a[138:139], a[50:51], v[184:187]// 000000009FA4: D3F300B8 1EE2658A
	s_add_u32 s84, s83, s84                                    // 000000009FAC: 80545453
	s_addc_u32 s85, 0, s85                                     // 000000009FB0: 82555580
	v_mfma_f32_16x16x32_fp8_fp8 v[184:187], a[140:141], a[52:53], v[184:187]// 000000009FB4: D3F300B8 1EE2698C
	v_mfma_f32_16x16x32_fp8_fp8 v[184:187], a[142:143], a[54:55], v[184:187]// 000000009FBC: D3F300B8 1EE26D8E
	s_addk_i32 s80, 0x80                                       // 000000009FC4: B7500080
	s_cmp_lt_i32 s80, s81                                      // 000000009FC8: BF045150
	s_cbranch_scc0 label_243F                                  // 000000009FCC: BF8406C8
	s_waitcnt vmcnt(18) lgkmcnt(0)                             // 000000009FD0: BF8C4072
	v_mfma_f32_16x16x32_fp8_fp8 v[76:79], a[144:145], a[56:57], v[76:79]// 000000009FD4: D3F3004C 1D327190
	buffer_load_dwordx4 a[128:131], v72, s[24:27], 0 offen     // 000000009FDC: E05C1000 80868048
	v_mfma_f32_16x16x32_fp8_fp8 v[76:79], a[146:147], a[58:59], v[76:79]// 000000009FE4: D3F3004C 1D327592
	v_mfma_f32_16x16x32_fp8_fp8 v[76:79], a[148:149], a[60:61], v[76:79]// 000000009FEC: D3F3004C 1D327994
	v_mfma_f32_16x16x32_fp8_fp8 v[76:79], a[150:151], a[62:63], v[76:79]// 000000009FF4: D3F3004C 1D327D96
	v_mfma_f32_16x16x32_fp8_fp8 v[104:107], a[152:153], a[56:57], v[104:107]// 000000009FFC: D3F30068 1DA27198
	buffer_load_dwordx4 a[132:135], v72, s[24:27], 0 offen offset:1024// 00000000A004: E05C1400 80868448
	v_mfma_f32_16x16x32_fp8_fp8 v[104:107], a[154:155], a[58:59], v[104:107]// 00000000A00C: D3F30068 1DA2759A
	v_mfma_f32_16x16x32_fp8_fp8 v[104:107], a[156:157], a[60:61], v[104:107]// 00000000A014: D3F30068 1DA2799C
	v_mfma_f32_16x16x32_fp8_fp8 v[104:107], a[158:159], a[62:63], v[104:107]// 00000000A01C: D3F30068 1DA27D9E
	v_mfma_f32_16x16x32_fp8_fp8 v[80:83], a[144:145], a[64:65], v[80:83]// 00000000A024: D3F30050 1D428190
	buffer_load_dwordx4 a[136:139], v73, s[24:27], 0 offen     // 00000000A02C: E05C1000 80868849
	v_mfma_f32_16x16x32_fp8_fp8 v[80:83], a[146:147], a[66:67], v[80:83]// 00000000A034: D3F30050 1D428592
	v_mfma_f32_16x16x32_fp8_fp8 v[80:83], a[148:149], a[68:69], v[80:83]// 00000000A03C: D3F30050 1D428994
	v_mfma_f32_16x16x32_fp8_fp8 v[80:83], a[150:151], a[70:71], v[80:83]// 00000000A044: D3F30050 1D428D96
	v_mfma_f32_16x16x32_fp8_fp8 v[108:111], a[152:153], a[64:65], v[108:111]// 00000000A04C: D3F3006C 1DB28198
	buffer_load_dwordx4 a[140:143], v73, s[24:27], 0 offen offset:1024// 00000000A054: E05C1400 80868C49
	buffer_load_dword v58, s[20:23], 0 offen lds               // 00000000A05C: E0511000 8005003A
	s_add_u32 m0, 0x100, s48                                   // 00000000A064: 807C30FF 00000100
	v_mfma_f32_16x16x32_fp8_fp8 v[108:111], a[154:155], a[66:67], v[108:111]// 00000000A06C: D3F3006C 1DB2859A
	v_mfma_f32_16x16x32_fp8_fp8 v[108:111], a[156:157], a[68:69], v[108:111]// 00000000A074: D3F3006C 1DB2899C
	buffer_load_dword v59, s[20:23], 0 offen lds               // 00000000A07C: E0511000 8005003B
	s_add_u32 m0, 0x200, s48                                   // 00000000A084: 807C30FF 00000200
	v_mfma_f32_16x16x32_fp8_fp8 v[108:111], a[158:159], a[70:71], v[108:111]// 00000000A08C: D3F3006C 1DB28D9E
	v_mfma_f32_16x16x32_fp8_fp8 v[84:87], a[144:145], a[72:73], v[84:87]// 00000000A094: D3F30054 1D529190
	buffer_load_dword v60, s[20:23], 0 offen lds               // 00000000A09C: E0511000 8005003C
	s_add_u32 m0, 0x300, s48                                   // 00000000A0A4: 807C30FF 00000300
	v_mfma_f32_16x16x32_fp8_fp8 v[84:87], a[146:147], a[74:75], v[84:87]// 00000000A0AC: D3F30054 1D529592
	v_mfma_f32_16x16x32_fp8_fp8 v[84:87], a[148:149], a[76:77], v[84:87]// 00000000A0B4: D3F30054 1D529994
	buffer_load_dword v61, s[20:23], 0 offen lds               // 00000000A0BC: E0511000 8005003D
	s_add_u32 m0, 0x400, s48                                   // 00000000A0C4: 807C30FF 00000400
	v_mfma_f32_16x16x32_fp8_fp8 v[84:87], a[150:151], a[78:79], v[84:87]// 00000000A0CC: D3F30054 1D529D96
	v_mfma_f32_16x16x32_fp8_fp8 v[112:115], a[152:153], a[72:73], v[112:115]// 00000000A0D4: D3F30070 1DC29198
	buffer_load_dword v62, s[20:23], 0 offen lds               // 00000000A0DC: E0511000 8005003E
	s_add_u32 m0, 0x500, s48                                   // 00000000A0E4: 807C30FF 00000500
	v_mfma_f32_16x16x32_fp8_fp8 v[112:115], a[154:155], a[74:75], v[112:115]// 00000000A0EC: D3F30070 1DC2959A
	v_mfma_f32_16x16x32_fp8_fp8 v[112:115], a[156:157], a[76:77], v[112:115]// 00000000A0F4: D3F30070 1DC2999C
	buffer_load_dword v63, s[20:23], 0 offen lds               // 00000000A0FC: E0511000 8005003F
	s_add_u32 m0, 0x600, s48                                   // 00000000A104: 807C30FF 00000600
	v_mfma_f32_16x16x32_fp8_fp8 v[112:115], a[158:159], a[78:79], v[112:115]// 00000000A10C: D3F30070 1DC29D9E
	v_mfma_f32_16x16x32_fp8_fp8 v[88:91], a[144:145], a[80:81], v[88:91]// 00000000A114: D3F30058 1D62A190
	buffer_load_dword v64, s[20:23], 0 offen lds               // 00000000A11C: E0511000 80050040
	s_add_u32 m0, 0x700, s48                                   // 00000000A124: 807C30FF 00000700
	v_mfma_f32_16x16x32_fp8_fp8 v[88:91], a[146:147], a[82:83], v[88:91]// 00000000A12C: D3F30058 1D62A592
	v_mfma_f32_16x16x32_fp8_fp8 v[88:91], a[148:149], a[84:85], v[88:91]// 00000000A134: D3F30058 1D62A994
	buffer_load_dword v65, s[20:23], 0 offen lds               // 00000000A13C: E0511000 80050041
	s_add_u32 m0, 0x800, s48                                   // 00000000A144: 807C30FF 00000800
	v_mfma_f32_16x16x32_fp8_fp8 v[88:91], a[150:151], a[86:87], v[88:91]// 00000000A14C: D3F30058 1D62AD96
	v_mfma_f32_16x16x32_fp8_fp8 v[116:119], a[152:153], a[80:81], v[116:119]// 00000000A154: D3F30074 1DD2A198
	buffer_load_dword v66, s[20:23], 0 offen lds               // 00000000A15C: E0511000 80050042
	s_add_u32 m0, 0x900, s48                                   // 00000000A164: 807C30FF 00000900
	v_mfma_f32_16x16x32_fp8_fp8 v[116:119], a[154:155], a[82:83], v[116:119]// 00000000A16C: D3F30074 1DD2A59A
	v_mfma_f32_16x16x32_fp8_fp8 v[116:119], a[156:157], a[84:85], v[116:119]// 00000000A174: D3F30074 1DD2A99C
	buffer_load_dword v67, s[20:23], 0 offen lds               // 00000000A17C: E0511000 80050043
	s_add_u32 m0, 0xa00, s48                                   // 00000000A184: 807C30FF 00000A00
	v_mfma_f32_16x16x32_fp8_fp8 v[116:119], a[158:159], a[86:87], v[116:119]// 00000000A18C: D3F30074 1DD2AD9E
	v_mfma_f32_16x16x32_fp8_fp8 v[92:95], a[144:145], a[88:89], v[92:95]// 00000000A194: D3F3005C 1D72B190
	buffer_load_dword v68, s[20:23], 0 offen lds               // 00000000A19C: E0511000 80050044
	s_add_u32 m0, 0xb00, s48                                   // 00000000A1A4: 807C30FF 00000B00
	v_mfma_f32_16x16x32_fp8_fp8 v[92:95], a[146:147], a[90:91], v[92:95]// 00000000A1AC: D3F3005C 1D72B592
	v_mfma_f32_16x16x32_fp8_fp8 v[92:95], a[148:149], a[92:93], v[92:95]// 00000000A1B4: D3F3005C 1D72B994
	buffer_load_dword v69, s[20:23], 0 offen lds               // 00000000A1BC: E0511000 80050045
	s_add_u32 m0, 0xc00, s48                                   // 00000000A1C4: 807C30FF 00000C00
	v_mfma_f32_16x16x32_fp8_fp8 v[92:95], a[150:151], a[94:95], v[92:95]// 00000000A1CC: D3F3005C 1D72BD96
	v_mfma_f32_16x16x32_fp8_fp8 v[120:123], a[152:153], a[88:89], v[120:123]// 00000000A1D4: D3F30078 1DE2B198
	buffer_load_dword v70, s[20:23], 0 offen lds               // 00000000A1DC: E0511000 80050046
	s_add_u32 m0, 0xd00, s48                                   // 00000000A1E4: 807C30FF 00000D00
	v_mfma_f32_16x16x32_fp8_fp8 v[120:123], a[154:155], a[90:91], v[120:123]// 00000000A1EC: D3F30078 1DE2B59A
	v_mfma_f32_16x16x32_fp8_fp8 v[120:123], a[156:157], a[92:93], v[120:123]// 00000000A1F4: D3F30078 1DE2B99C
	buffer_load_dword v71, s[20:23], 0 offen lds               // 00000000A1FC: E0511000 80050047
	s_add_u32 m0, 0, s49                                       // 00000000A204: 807C3180
	v_mfma_f32_16x16x32_fp8_fp8 v[120:123], a[158:159], a[94:95], v[120:123]// 00000000A208: D3F30078 1DE2BD9E
	v_mfma_f32_16x16x32_fp8_fp8 v[96:99], a[144:145], a[96:97], v[96:99]// 00000000A210: D3F30060 1D82C190
	v_mfma_f32_16x16x32_fp8_fp8 v[96:99], a[146:147], a[98:99], v[96:99]// 00000000A218: D3F30060 1D82C592
	v_mfma_f32_16x16x32_fp8_fp8 v[96:99], a[148:149], a[100:101], v[96:99]// 00000000A220: D3F30060 1D82C994
	v_mfma_f32_16x16x32_fp8_fp8 v[96:99], a[150:151], a[102:103], v[96:99]// 00000000A228: D3F30060 1D82CD96
	v_mfma_f32_16x16x32_fp8_fp8 v[124:127], a[152:153], a[96:97], v[124:127]// 00000000A230: D3F3007C 1DF2C198
	v_mfma_f32_16x16x32_fp8_fp8 v[124:127], a[154:155], a[98:99], v[124:127]// 00000000A238: D3F3007C 1DF2C59A
	v_mfma_f32_16x16x32_fp8_fp8 v[124:127], a[156:157], a[100:101], v[124:127]// 00000000A240: D3F3007C 1DF2C99C
	v_mfma_f32_16x16x32_fp8_fp8 v[124:127], a[158:159], a[102:103], v[124:127]// 00000000A248: D3F3007C 1DF2CD9E
	v_mfma_f32_16x16x32_fp8_fp8 v[100:103], a[144:145], a[104:105], v[100:103]// 00000000A250: D3F30064 1D92D190
	v_mfma_f32_16x16x32_fp8_fp8 v[100:103], a[146:147], a[106:107], v[100:103]// 00000000A258: D3F30064 1D92D592
	v_mfma_f32_16x16x32_fp8_fp8 v[100:103], a[148:149], a[108:109], v[100:103]// 00000000A260: D3F30064 1D92D994
	v_mfma_f32_16x16x32_fp8_fp8 v[100:103], a[150:151], a[110:111], v[100:103]// 00000000A268: D3F30064 1D92DD96
	v_mfma_f32_16x16x32_fp8_fp8 v[128:131], a[152:153], a[104:105], v[128:131]// 00000000A270: D3F30080 1E02D198
	v_mfma_f32_16x16x32_fp8_fp8 v[128:131], a[154:155], a[106:107], v[128:131]// 00000000A278: D3F30080 1E02D59A
	v_mfma_f32_16x16x32_fp8_fp8 v[128:131], a[156:157], a[108:109], v[128:131]// 00000000A280: D3F30080 1E02D99C
	v_mfma_f32_16x16x32_fp8_fp8 v[128:131], a[158:159], a[110:111], v[128:131]// 00000000A288: D3F30080 1E02DD9E
	s_waitcnt vmcnt(18)                                        // 00000000A290: BF8C4F72
	s_barrier                                                  // 00000000A294: BF8A0000
	v_mfma_f32_16x16x32_fp8_fp8 v[132:135], a[112:113], a[56:57], v[132:135]// 00000000A298: D3F30084 1E127170
	buffer_load_dwordx4 a[144:147], v72, s[84:87], 0 offen     // 00000000A2A0: E05C1000 80959048
	v_mfma_f32_16x16x32_fp8_fp8 v[132:135], a[114:115], a[58:59], v[132:135]// 00000000A2A8: D3F30084 1E127572
	v_mfma_f32_16x16x32_fp8_fp8 v[132:135], a[116:117], a[60:61], v[132:135]// 00000000A2B0: D3F30084 1E127974
	ds_read_b128 a[0:3], v2 offset:28928                       // 00000000A2B8: DBFE7100 00000002
	ds_read_b128 a[4:7], v2 offset:28992                       // 00000000A2C0: DBFE7140 04000002
	v_mfma_f32_16x16x32_fp8_fp8 v[132:135], a[118:119], a[62:63], v[132:135]// 00000000A2C8: D3F30084 1E127D76
	v_mfma_f32_16x16x32_fp8_fp8 v[160:163], a[120:121], a[56:57], v[160:163]// 00000000A2D0: D3F300A0 1E827178
	buffer_load_dwordx4 a[148:151], v72, s[84:87], 0 offen offset:1024// 00000000A2D8: E05C1400 80959448
	v_mfma_f32_16x16x32_fp8_fp8 v[160:163], a[122:123], a[58:59], v[160:163]// 00000000A2E0: D3F300A0 1E82757A
	v_mfma_f32_16x16x32_fp8_fp8 v[160:163], a[124:125], a[60:61], v[160:163]// 00000000A2E8: D3F300A0 1E82797C
	ds_read_b128 a[8:11], v2 offset:29440                      // 00000000A2F0: DBFE7300 08000002
	ds_read_b128 a[12:15], v2 offset:29504                     // 00000000A2F8: DBFE7340 0C000002
	v_mfma_f32_16x16x32_fp8_fp8 v[160:163], a[126:127], a[62:63], v[160:163]// 00000000A300: D3F300A0 1E827D7E
	v_mfma_f32_16x16x32_fp8_fp8 v[136:139], a[112:113], a[64:65], v[136:139]// 00000000A308: D3F30088 1E228170
	buffer_load_dwordx4 a[152:155], v73, s[84:87], 0 offen     // 00000000A310: E05C1000 80959849
	v_mfma_f32_16x16x32_fp8_fp8 v[136:139], a[114:115], a[66:67], v[136:139]// 00000000A318: D3F30088 1E228572
	v_mfma_f32_16x16x32_fp8_fp8 v[136:139], a[116:117], a[68:69], v[136:139]// 00000000A320: D3F30088 1E228974
	ds_read_b128 a[16:19], v2 offset:29952                     // 00000000A328: DBFE7500 10000002
	ds_read_b128 a[20:23], v2 offset:30016                     // 00000000A330: DBFE7540 14000002
	v_mfma_f32_16x16x32_fp8_fp8 v[136:139], a[118:119], a[70:71], v[136:139]// 00000000A338: D3F30088 1E228D76
	v_mfma_f32_16x16x32_fp8_fp8 v[164:167], a[120:121], a[64:65], v[164:167]// 00000000A340: D3F300A4 1E928178
	buffer_load_dwordx4 a[156:159], v73, s[84:87], 0 offen offset:1024// 00000000A348: E05C1400 80959C49
	v_mfma_f32_16x16x32_fp8_fp8 v[164:167], a[122:123], a[66:67], v[164:167]// 00000000A350: D3F300A4 1E92857A
	v_mfma_f32_16x16x32_fp8_fp8 v[164:167], a[124:125], a[68:69], v[164:167]// 00000000A358: D3F300A4 1E92897C
	ds_read_b128 a[24:27], v2 offset:30464                     // 00000000A360: DBFE7700 18000002
	ds_read_b128 a[28:31], v2 offset:30528                     // 00000000A368: DBFE7740 1C000002
	v_mfma_f32_16x16x32_fp8_fp8 v[164:167], a[126:127], a[70:71], v[164:167]// 00000000A370: D3F300A4 1E928D7E
	v_mfma_f32_16x16x32_fp8_fp8 v[140:143], a[112:113], a[72:73], v[140:143]// 00000000A378: D3F3008C 1E329170
	v_mfma_f32_16x16x32_fp8_fp8 v[140:143], a[114:115], a[74:75], v[140:143]// 00000000A380: D3F3008C 1E329572
	v_mfma_f32_16x16x32_fp8_fp8 v[140:143], a[116:117], a[76:77], v[140:143]// 00000000A388: D3F3008C 1E329974
	ds_read_b128 a[32:35], v2 offset:30976                     // 00000000A390: DBFE7900 20000002
	ds_read_b128 a[36:39], v2 offset:31040                     // 00000000A398: DBFE7940 24000002
	v_mfma_f32_16x16x32_fp8_fp8 v[140:143], a[118:119], a[78:79], v[140:143]// 00000000A3A0: D3F3008C 1E329D76
	v_mfma_f32_16x16x32_fp8_fp8 v[168:171], a[120:121], a[72:73], v[168:171]// 00000000A3A8: D3F300A8 1EA29178
	v_mfma_f32_16x16x32_fp8_fp8 v[168:171], a[122:123], a[74:75], v[168:171]// 00000000A3B0: D3F300A8 1EA2957A
	v_mfma_f32_16x16x32_fp8_fp8 v[168:171], a[124:125], a[76:77], v[168:171]// 00000000A3B8: D3F300A8 1EA2997C
	ds_read_b128 a[40:43], v2 offset:31488                     // 00000000A3C0: DBFE7B00 28000002
	ds_read_b128 a[44:47], v2 offset:31552                     // 00000000A3C8: DBFE7B40 2C000002
	v_mfma_f32_16x16x32_fp8_fp8 v[168:171], a[126:127], a[78:79], v[168:171]// 00000000A3D0: D3F300A8 1EA29D7E
	v_mfma_f32_16x16x32_fp8_fp8 v[144:147], a[112:113], a[80:81], v[144:147]// 00000000A3D8: D3F30090 1E42A170
	v_mfma_f32_16x16x32_fp8_fp8 v[144:147], a[114:115], a[82:83], v[144:147]// 00000000A3E0: D3F30090 1E42A572
	v_mfma_f32_16x16x32_fp8_fp8 v[144:147], a[116:117], a[84:85], v[144:147]// 00000000A3E8: D3F30090 1E42A974
	ds_read_b128 a[48:51], v2 offset:32000                     // 00000000A3F0: DBFE7D00 30000002
	ds_read_b128 a[52:55], v2 offset:32064                     // 00000000A3F8: DBFE7D40 34000002
	v_mfma_f32_16x16x32_fp8_fp8 v[144:147], a[118:119], a[86:87], v[144:147]// 00000000A400: D3F30090 1E42AD76
	v_mfma_f32_16x16x32_fp8_fp8 v[172:175], a[120:121], a[80:81], v[172:175]// 00000000A408: D3F300AC 1EB2A178
	v_mfma_f32_16x16x32_fp8_fp8 v[172:175], a[122:123], a[82:83], v[172:175]// 00000000A410: D3F300AC 1EB2A57A
	v_mfma_f32_16x16x32_fp8_fp8 v[172:175], a[124:125], a[84:85], v[172:175]// 00000000A418: D3F300AC 1EB2A97C
	v_mfma_f32_16x16x32_fp8_fp8 v[172:175], a[126:127], a[86:87], v[172:175]// 00000000A420: D3F300AC 1EB2AD7E
	v_mfma_f32_16x16x32_fp8_fp8 v[148:151], a[112:113], a[88:89], v[148:151]// 00000000A428: D3F30094 1E52B170
	v_mfma_f32_16x16x32_fp8_fp8 v[148:151], a[114:115], a[90:91], v[148:151]// 00000000A430: D3F30094 1E52B572
	v_mfma_f32_16x16x32_fp8_fp8 v[148:151], a[116:117], a[92:93], v[148:151]// 00000000A438: D3F30094 1E52B974
	v_mfma_f32_16x16x32_fp8_fp8 v[148:151], a[118:119], a[94:95], v[148:151]// 00000000A440: D3F30094 1E52BD76
	v_mfma_f32_16x16x32_fp8_fp8 v[176:179], a[120:121], a[88:89], v[176:179]// 00000000A448: D3F300B0 1EC2B178
	v_mfma_f32_16x16x32_fp8_fp8 v[176:179], a[122:123], a[90:91], v[176:179]// 00000000A450: D3F300B0 1EC2B57A
	v_mfma_f32_16x16x32_fp8_fp8 v[176:179], a[124:125], a[92:93], v[176:179]// 00000000A458: D3F300B0 1EC2B97C
	v_mfma_f32_16x16x32_fp8_fp8 v[176:179], a[126:127], a[94:95], v[176:179]// 00000000A460: D3F300B0 1EC2BD7E
	v_mfma_f32_16x16x32_fp8_fp8 v[152:155], a[112:113], a[96:97], v[152:155]// 00000000A468: D3F30098 1E62C170
	v_mfma_f32_16x16x32_fp8_fp8 v[152:155], a[114:115], a[98:99], v[152:155]// 00000000A470: D3F30098 1E62C572
	v_mfma_f32_16x16x32_fp8_fp8 v[152:155], a[116:117], a[100:101], v[152:155]// 00000000A478: D3F30098 1E62C974
	v_mfma_f32_16x16x32_fp8_fp8 v[152:155], a[118:119], a[102:103], v[152:155]// 00000000A480: D3F30098 1E62CD76
	v_mfma_f32_16x16x32_fp8_fp8 v[180:183], a[120:121], a[96:97], v[180:183]// 00000000A488: D3F300B4 1ED2C178
	v_mfma_f32_16x16x32_fp8_fp8 v[180:183], a[122:123], a[98:99], v[180:183]// 00000000A490: D3F300B4 1ED2C57A
	v_mfma_f32_16x16x32_fp8_fp8 v[180:183], a[124:125], a[100:101], v[180:183]// 00000000A498: D3F300B4 1ED2C97C
	v_mfma_f32_16x16x32_fp8_fp8 v[180:183], a[126:127], a[102:103], v[180:183]// 00000000A4A0: D3F300B4 1ED2CD7E
	v_mfma_f32_16x16x32_fp8_fp8 v[156:159], a[112:113], a[104:105], v[156:159]// 00000000A4A8: D3F3009C 1E72D170
	s_add_u32 s60, 0x180, s80                                  // 00000000A4B0: 803C50FF 00000180
	s_cmp_lt_u32 s60, s81                                      // 00000000A4B8: BF0A513C
	s_cselect_b32 s57, s57, 0                                  // 00000000A4BC: 85398039
	v_mfma_f32_16x16x32_fp8_fp8 v[156:159], a[114:115], a[106:107], v[156:159]// 00000000A4C0: D3F3009C 1E72D572
	s_add_u32 s60, 0x100, s80                                  // 00000000A4C8: 803C50FF 00000100
	s_cmp_lt_u32 s60, s81                                      // 00000000A4D0: BF0A513C
	s_cselect_b32 s58, s58, 0                                  // 00000000A4D4: 853A803A
	v_mfma_f32_16x16x32_fp8_fp8 v[156:159], a[116:117], a[108:109], v[156:159]// 00000000A4D8: D3F3009C 1E72D974
	s_add_u32 s60, 0x100, s80                                  // 00000000A4E0: 803C50FF 00000100
	s_cmp_lt_u32 s60, s81                                      // 00000000A4E8: BF0A513C
	s_cselect_b32 s83, s83, 0                                  // 00000000A4EC: 85538053
	v_mfma_f32_16x16x32_fp8_fp8 v[156:159], a[118:119], a[110:111], v[156:159]// 00000000A4F0: D3F3009C 1E72DD76
	s_add_u32 s24, s58, s24                                    // 00000000A4F8: 8018183A
	s_addc_u32 s25, 0, s25                                     // 00000000A4FC: 82191980
	v_mfma_f32_16x16x32_fp8_fp8 v[184:187], a[120:121], a[104:105], v[184:187]// 00000000A500: D3F300B8 1EE2D178
	s_add_u32 s20, s57, s20                                    // 00000000A508: 80141439
	s_addc_u32 s21, 0, s21                                     // 00000000A50C: 82151580
	v_mfma_f32_16x16x32_fp8_fp8 v[184:187], a[122:123], a[106:107], v[184:187]// 00000000A510: D3F300B8 1EE2D57A
	s_add_u32 s84, s83, s84                                    // 00000000A518: 80545453
	s_addc_u32 s85, 0, s85                                     // 00000000A51C: 82555580
	v_mfma_f32_16x16x32_fp8_fp8 v[184:187], a[124:125], a[108:109], v[184:187]// 00000000A520: D3F300B8 1EE2D97C
	v_mfma_f32_16x16x32_fp8_fp8 v[184:187], a[126:127], a[110:111], v[184:187]// 00000000A528: D3F300B8 1EE2DD7E
	s_addk_i32 s80, 0x80                                       // 00000000A530: B7500080
	s_cmp_lt_i32 s80, s81                                      // 00000000A534: BF045150
	s_cbranch_scc0 label_243F                                  // 00000000A538: BF84056D
	s_waitcnt vmcnt(18) lgkmcnt(0)                             // 00000000A53C: BF8C4072
	v_mfma_f32_16x16x32_fp8_fp8 v[76:79], a[128:129], a[0:1], v[76:79]// 00000000A540: D3F3004C 1D320180
	buffer_load_dwordx4 a[112:115], v72, s[24:27], 0 offen     // 00000000A548: E05C1000 80867048
	v_mfma_f32_16x16x32_fp8_fp8 v[76:79], a[130:131], a[2:3], v[76:79]// 00000000A550: D3F3004C 1D320582
	v_mfma_f32_16x16x32_fp8_fp8 v[76:79], a[132:133], a[4:5], v[76:79]// 00000000A558: D3F3004C 1D320984
	v_mfma_f32_16x16x32_fp8_fp8 v[76:79], a[134:135], a[6:7], v[76:79]// 00000000A560: D3F3004C 1D320D86
	v_mfma_f32_16x16x32_fp8_fp8 v[104:107], a[136:137], a[0:1], v[104:107]// 00000000A568: D3F30068 1DA20188
	buffer_load_dwordx4 a[116:119], v72, s[24:27], 0 offen offset:1024// 00000000A570: E05C1400 80867448
	v_mfma_f32_16x16x32_fp8_fp8 v[104:107], a[138:139], a[2:3], v[104:107]// 00000000A578: D3F30068 1DA2058A
	v_mfma_f32_16x16x32_fp8_fp8 v[104:107], a[140:141], a[4:5], v[104:107]// 00000000A580: D3F30068 1DA2098C
	v_mfma_f32_16x16x32_fp8_fp8 v[104:107], a[142:143], a[6:7], v[104:107]// 00000000A588: D3F30068 1DA20D8E
	v_mfma_f32_16x16x32_fp8_fp8 v[80:83], a[128:129], a[8:9], v[80:83]// 00000000A590: D3F30050 1D421180
	buffer_load_dwordx4 a[120:123], v73, s[24:27], 0 offen     // 00000000A598: E05C1000 80867849
	v_mfma_f32_16x16x32_fp8_fp8 v[80:83], a[130:131], a[10:11], v[80:83]// 00000000A5A0: D3F30050 1D421582
	v_mfma_f32_16x16x32_fp8_fp8 v[80:83], a[132:133], a[12:13], v[80:83]// 00000000A5A8: D3F30050 1D421984
	v_mfma_f32_16x16x32_fp8_fp8 v[80:83], a[134:135], a[14:15], v[80:83]// 00000000A5B0: D3F30050 1D421D86
	v_mfma_f32_16x16x32_fp8_fp8 v[108:111], a[136:137], a[8:9], v[108:111]// 00000000A5B8: D3F3006C 1DB21188
	buffer_load_dwordx4 a[124:127], v73, s[24:27], 0 offen offset:1024// 00000000A5C0: E05C1400 80867C49
	buffer_load_dword v58, s[20:23], 0 offen lds               // 00000000A5C8: E0511000 8005003A
	s_add_u32 m0, 0x100, s49                                   // 00000000A5D0: 807C31FF 00000100
	v_mfma_f32_16x16x32_fp8_fp8 v[108:111], a[138:139], a[10:11], v[108:111]// 00000000A5D8: D3F3006C 1DB2158A
	v_mfma_f32_16x16x32_fp8_fp8 v[108:111], a[140:141], a[12:13], v[108:111]// 00000000A5E0: D3F3006C 1DB2198C
	buffer_load_dword v59, s[20:23], 0 offen lds               // 00000000A5E8: E0511000 8005003B
	s_add_u32 m0, 0x200, s49                                   // 00000000A5F0: 807C31FF 00000200
	v_mfma_f32_16x16x32_fp8_fp8 v[108:111], a[142:143], a[14:15], v[108:111]// 00000000A5F8: D3F3006C 1DB21D8E
	v_mfma_f32_16x16x32_fp8_fp8 v[84:87], a[128:129], a[16:17], v[84:87]// 00000000A600: D3F30054 1D522180
	buffer_load_dword v60, s[20:23], 0 offen lds               // 00000000A608: E0511000 8005003C
	s_add_u32 m0, 0x300, s49                                   // 00000000A610: 807C31FF 00000300
	v_mfma_f32_16x16x32_fp8_fp8 v[84:87], a[130:131], a[18:19], v[84:87]// 00000000A618: D3F30054 1D522582
	v_mfma_f32_16x16x32_fp8_fp8 v[84:87], a[132:133], a[20:21], v[84:87]// 00000000A620: D3F30054 1D522984
	buffer_load_dword v61, s[20:23], 0 offen lds               // 00000000A628: E0511000 8005003D
	s_add_u32 m0, 0x400, s49                                   // 00000000A630: 807C31FF 00000400
	v_mfma_f32_16x16x32_fp8_fp8 v[84:87], a[134:135], a[22:23], v[84:87]// 00000000A638: D3F30054 1D522D86
	v_mfma_f32_16x16x32_fp8_fp8 v[112:115], a[136:137], a[16:17], v[112:115]// 00000000A640: D3F30070 1DC22188
	buffer_load_dword v62, s[20:23], 0 offen lds               // 00000000A648: E0511000 8005003E
	s_add_u32 m0, 0x500, s49                                   // 00000000A650: 807C31FF 00000500
	v_mfma_f32_16x16x32_fp8_fp8 v[112:115], a[138:139], a[18:19], v[112:115]// 00000000A658: D3F30070 1DC2258A
	v_mfma_f32_16x16x32_fp8_fp8 v[112:115], a[140:141], a[20:21], v[112:115]// 00000000A660: D3F30070 1DC2298C
	buffer_load_dword v63, s[20:23], 0 offen lds               // 00000000A668: E0511000 8005003F
	s_add_u32 m0, 0x600, s49                                   // 00000000A670: 807C31FF 00000600
	v_mfma_f32_16x16x32_fp8_fp8 v[112:115], a[142:143], a[22:23], v[112:115]// 00000000A678: D3F30070 1DC22D8E
	v_mfma_f32_16x16x32_fp8_fp8 v[88:91], a[128:129], a[24:25], v[88:91]// 00000000A680: D3F30058 1D623180
	buffer_load_dword v64, s[20:23], 0 offen lds               // 00000000A688: E0511000 80050040
	s_add_u32 m0, 0x700, s49                                   // 00000000A690: 807C31FF 00000700
	v_mfma_f32_16x16x32_fp8_fp8 v[88:91], a[130:131], a[26:27], v[88:91]// 00000000A698: D3F30058 1D623582
	v_mfma_f32_16x16x32_fp8_fp8 v[88:91], a[132:133], a[28:29], v[88:91]// 00000000A6A0: D3F30058 1D623984
	buffer_load_dword v65, s[20:23], 0 offen lds               // 00000000A6A8: E0511000 80050041
	s_add_u32 m0, 0x800, s49                                   // 00000000A6B0: 807C31FF 00000800
	v_mfma_f32_16x16x32_fp8_fp8 v[88:91], a[134:135], a[30:31], v[88:91]// 00000000A6B8: D3F30058 1D623D86
	v_mfma_f32_16x16x32_fp8_fp8 v[116:119], a[136:137], a[24:25], v[116:119]// 00000000A6C0: D3F30074 1DD23188
	buffer_load_dword v66, s[20:23], 0 offen lds               // 00000000A6C8: E0511000 80050042
	s_add_u32 m0, 0x900, s49                                   // 00000000A6D0: 807C31FF 00000900
	v_mfma_f32_16x16x32_fp8_fp8 v[116:119], a[138:139], a[26:27], v[116:119]// 00000000A6D8: D3F30074 1DD2358A
	v_mfma_f32_16x16x32_fp8_fp8 v[116:119], a[140:141], a[28:29], v[116:119]// 00000000A6E0: D3F30074 1DD2398C
	buffer_load_dword v67, s[20:23], 0 offen lds               // 00000000A6E8: E0511000 80050043
	s_add_u32 m0, 0xa00, s49                                   // 00000000A6F0: 807C31FF 00000A00
	v_mfma_f32_16x16x32_fp8_fp8 v[116:119], a[142:143], a[30:31], v[116:119]// 00000000A6F8: D3F30074 1DD23D8E
	v_mfma_f32_16x16x32_fp8_fp8 v[92:95], a[128:129], a[32:33], v[92:95]// 00000000A700: D3F3005C 1D724180
	buffer_load_dword v68, s[20:23], 0 offen lds               // 00000000A708: E0511000 80050044
	s_add_u32 m0, 0xb00, s49                                   // 00000000A710: 807C31FF 00000B00
	v_mfma_f32_16x16x32_fp8_fp8 v[92:95], a[130:131], a[34:35], v[92:95]// 00000000A718: D3F3005C 1D724582
	v_mfma_f32_16x16x32_fp8_fp8 v[92:95], a[132:133], a[36:37], v[92:95]// 00000000A720: D3F3005C 1D724984
	buffer_load_dword v69, s[20:23], 0 offen lds               // 00000000A728: E0511000 80050045
	s_add_u32 m0, 0xc00, s49                                   // 00000000A730: 807C31FF 00000C00
	v_mfma_f32_16x16x32_fp8_fp8 v[92:95], a[134:135], a[38:39], v[92:95]// 00000000A738: D3F3005C 1D724D86
	v_mfma_f32_16x16x32_fp8_fp8 v[120:123], a[136:137], a[32:33], v[120:123]// 00000000A740: D3F30078 1DE24188
	buffer_load_dword v70, s[20:23], 0 offen lds               // 00000000A748: E0511000 80050046
	s_add_u32 m0, 0xd00, s49                                   // 00000000A750: 807C31FF 00000D00
	v_mfma_f32_16x16x32_fp8_fp8 v[120:123], a[138:139], a[34:35], v[120:123]// 00000000A758: D3F30078 1DE2458A
	v_mfma_f32_16x16x32_fp8_fp8 v[120:123], a[140:141], a[36:37], v[120:123]// 00000000A760: D3F30078 1DE2498C
	buffer_load_dword v71, s[20:23], 0 offen lds               // 00000000A768: E0511000 80050047
	s_add_u32 m0, 0, s50                                       // 00000000A770: 807C3280
	v_mfma_f32_16x16x32_fp8_fp8 v[120:123], a[142:143], a[38:39], v[120:123]// 00000000A774: D3F30078 1DE24D8E
	v_mfma_f32_16x16x32_fp8_fp8 v[96:99], a[128:129], a[40:41], v[96:99]// 00000000A77C: D3F30060 1D825180
	v_mfma_f32_16x16x32_fp8_fp8 v[96:99], a[130:131], a[42:43], v[96:99]// 00000000A784: D3F30060 1D825582
	v_mfma_f32_16x16x32_fp8_fp8 v[96:99], a[132:133], a[44:45], v[96:99]// 00000000A78C: D3F30060 1D825984
	v_mfma_f32_16x16x32_fp8_fp8 v[96:99], a[134:135], a[46:47], v[96:99]// 00000000A794: D3F30060 1D825D86
	v_mfma_f32_16x16x32_fp8_fp8 v[124:127], a[136:137], a[40:41], v[124:127]// 00000000A79C: D3F3007C 1DF25188
	v_mfma_f32_16x16x32_fp8_fp8 v[124:127], a[138:139], a[42:43], v[124:127]// 00000000A7A4: D3F3007C 1DF2558A
	v_mfma_f32_16x16x32_fp8_fp8 v[124:127], a[140:141], a[44:45], v[124:127]// 00000000A7AC: D3F3007C 1DF2598C
	v_mfma_f32_16x16x32_fp8_fp8 v[124:127], a[142:143], a[46:47], v[124:127]// 00000000A7B4: D3F3007C 1DF25D8E
	v_mfma_f32_16x16x32_fp8_fp8 v[100:103], a[128:129], a[48:49], v[100:103]// 00000000A7BC: D3F30064 1D926180
	v_mfma_f32_16x16x32_fp8_fp8 v[100:103], a[130:131], a[50:51], v[100:103]// 00000000A7C4: D3F30064 1D926582
	v_mfma_f32_16x16x32_fp8_fp8 v[100:103], a[132:133], a[52:53], v[100:103]// 00000000A7CC: D3F30064 1D926984
	v_mfma_f32_16x16x32_fp8_fp8 v[100:103], a[134:135], a[54:55], v[100:103]// 00000000A7D4: D3F30064 1D926D86
	v_mfma_f32_16x16x32_fp8_fp8 v[128:131], a[136:137], a[48:49], v[128:131]// 00000000A7DC: D3F30080 1E026188
	v_mfma_f32_16x16x32_fp8_fp8 v[128:131], a[138:139], a[50:51], v[128:131]// 00000000A7E4: D3F30080 1E02658A
	v_mfma_f32_16x16x32_fp8_fp8 v[128:131], a[140:141], a[52:53], v[128:131]// 00000000A7EC: D3F30080 1E02698C
	v_mfma_f32_16x16x32_fp8_fp8 v[128:131], a[142:143], a[54:55], v[128:131]// 00000000A7F4: D3F30080 1E026D8E
	s_waitcnt vmcnt(18)                                        // 00000000A7FC: BF8C4F72
	s_barrier                                                  // 00000000A800: BF8A0000
	v_mfma_f32_16x16x32_fp8_fp8 v[132:135], a[144:145], a[0:1], v[132:135]// 00000000A804: D3F30084 1E120190
	buffer_load_dwordx4 a[128:131], v72, s[84:87], 0 offen     // 00000000A80C: E05C1000 80958048
	v_mfma_f32_16x16x32_fp8_fp8 v[132:135], a[146:147], a[2:3], v[132:135]// 00000000A814: D3F30084 1E120592
	v_mfma_f32_16x16x32_fp8_fp8 v[132:135], a[148:149], a[4:5], v[132:135]// 00000000A81C: D3F30084 1E120994
	ds_read_b128 a[56:59], v2                                  // 00000000A824: DBFE0000 38000002
	ds_read_b128 a[60:63], v2 offset:64                        // 00000000A82C: DBFE0040 3C000002
	v_mfma_f32_16x16x32_fp8_fp8 v[132:135], a[150:151], a[6:7], v[132:135]// 00000000A834: D3F30084 1E120D96
	v_mfma_f32_16x16x32_fp8_fp8 v[160:163], a[152:153], a[0:1], v[160:163]// 00000000A83C: D3F300A0 1E820198
	buffer_load_dwordx4 a[132:135], v72, s[84:87], 0 offen offset:1024// 00000000A844: E05C1400 80958448
	v_mfma_f32_16x16x32_fp8_fp8 v[160:163], a[154:155], a[2:3], v[160:163]// 00000000A84C: D3F300A0 1E82059A
	v_mfma_f32_16x16x32_fp8_fp8 v[160:163], a[156:157], a[4:5], v[160:163]// 00000000A854: D3F300A0 1E82099C
	ds_read_b128 a[64:67], v2 offset:512                       // 00000000A85C: DBFE0200 40000002
	ds_read_b128 a[68:71], v2 offset:576                       // 00000000A864: DBFE0240 44000002
	v_mfma_f32_16x16x32_fp8_fp8 v[160:163], a[158:159], a[6:7], v[160:163]// 00000000A86C: D3F300A0 1E820D9E
	v_mfma_f32_16x16x32_fp8_fp8 v[136:139], a[144:145], a[8:9], v[136:139]// 00000000A874: D3F30088 1E221190
	buffer_load_dwordx4 a[136:139], v73, s[84:87], 0 offen     // 00000000A87C: E05C1000 80958849
	v_mfma_f32_16x16x32_fp8_fp8 v[136:139], a[146:147], a[10:11], v[136:139]// 00000000A884: D3F30088 1E221592
	v_mfma_f32_16x16x32_fp8_fp8 v[136:139], a[148:149], a[12:13], v[136:139]// 00000000A88C: D3F30088 1E221994
	ds_read_b128 a[72:75], v2 offset:1024                      // 00000000A894: DBFE0400 48000002
	ds_read_b128 a[76:79], v2 offset:1088                      // 00000000A89C: DBFE0440 4C000002
	v_mfma_f32_16x16x32_fp8_fp8 v[136:139], a[150:151], a[14:15], v[136:139]// 00000000A8A4: D3F30088 1E221D96
	v_mfma_f32_16x16x32_fp8_fp8 v[164:167], a[152:153], a[8:9], v[164:167]// 00000000A8AC: D3F300A4 1E921198
	buffer_load_dwordx4 a[140:143], v73, s[84:87], 0 offen offset:1024// 00000000A8B4: E05C1400 80958C49
	v_mfma_f32_16x16x32_fp8_fp8 v[164:167], a[154:155], a[10:11], v[164:167]// 00000000A8BC: D3F300A4 1E92159A
	v_mfma_f32_16x16x32_fp8_fp8 v[164:167], a[156:157], a[12:13], v[164:167]// 00000000A8C4: D3F300A4 1E92199C
	ds_read_b128 a[80:83], v2 offset:1536                      // 00000000A8CC: DBFE0600 50000002
	ds_read_b128 a[84:87], v2 offset:1600                      // 00000000A8D4: DBFE0640 54000002
	v_mfma_f32_16x16x32_fp8_fp8 v[164:167], a[158:159], a[14:15], v[164:167]// 00000000A8DC: D3F300A4 1E921D9E
	v_mfma_f32_16x16x32_fp8_fp8 v[140:143], a[144:145], a[16:17], v[140:143]// 00000000A8E4: D3F3008C 1E322190
	v_mfma_f32_16x16x32_fp8_fp8 v[140:143], a[146:147], a[18:19], v[140:143]// 00000000A8EC: D3F3008C 1E322592
	v_mfma_f32_16x16x32_fp8_fp8 v[140:143], a[148:149], a[20:21], v[140:143]// 00000000A8F4: D3F3008C 1E322994
	ds_read_b128 a[88:91], v2 offset:2048                      // 00000000A8FC: DBFE0800 58000002
	ds_read_b128 a[92:95], v2 offset:2112                      // 00000000A904: DBFE0840 5C000002
	v_mfma_f32_16x16x32_fp8_fp8 v[140:143], a[150:151], a[22:23], v[140:143]// 00000000A90C: D3F3008C 1E322D96
	v_mfma_f32_16x16x32_fp8_fp8 v[168:171], a[152:153], a[16:17], v[168:171]// 00000000A914: D3F300A8 1EA22198
	v_mfma_f32_16x16x32_fp8_fp8 v[168:171], a[154:155], a[18:19], v[168:171]// 00000000A91C: D3F300A8 1EA2259A
	v_mfma_f32_16x16x32_fp8_fp8 v[168:171], a[156:157], a[20:21], v[168:171]// 00000000A924: D3F300A8 1EA2299C
	ds_read_b128 a[96:99], v2 offset:2560                      // 00000000A92C: DBFE0A00 60000002
	ds_read_b128 a[100:103], v2 offset:2624                    // 00000000A934: DBFE0A40 64000002
	v_mfma_f32_16x16x32_fp8_fp8 v[168:171], a[158:159], a[22:23], v[168:171]// 00000000A93C: D3F300A8 1EA22D9E
	v_mfma_f32_16x16x32_fp8_fp8 v[144:147], a[144:145], a[24:25], v[144:147]// 00000000A944: D3F30090 1E423190
	v_mfma_f32_16x16x32_fp8_fp8 v[144:147], a[146:147], a[26:27], v[144:147]// 00000000A94C: D3F30090 1E423592
	v_mfma_f32_16x16x32_fp8_fp8 v[144:147], a[148:149], a[28:29], v[144:147]// 00000000A954: D3F30090 1E423994
	ds_read_b128 a[104:107], v2 offset:3072                    // 00000000A95C: DBFE0C00 68000002
	ds_read_b128 a[108:111], v2 offset:3136                    // 00000000A964: DBFE0C40 6C000002
	v_mfma_f32_16x16x32_fp8_fp8 v[144:147], a[150:151], a[30:31], v[144:147]// 00000000A96C: D3F30090 1E423D96
	v_mfma_f32_16x16x32_fp8_fp8 v[172:175], a[152:153], a[24:25], v[172:175]// 00000000A974: D3F300AC 1EB23198
	v_mfma_f32_16x16x32_fp8_fp8 v[172:175], a[154:155], a[26:27], v[172:175]// 00000000A97C: D3F300AC 1EB2359A
	v_mfma_f32_16x16x32_fp8_fp8 v[172:175], a[156:157], a[28:29], v[172:175]// 00000000A984: D3F300AC 1EB2399C
	v_mfma_f32_16x16x32_fp8_fp8 v[172:175], a[158:159], a[30:31], v[172:175]// 00000000A98C: D3F300AC 1EB23D9E
	v_mfma_f32_16x16x32_fp8_fp8 v[148:151], a[144:145], a[32:33], v[148:151]// 00000000A994: D3F30094 1E524190
	v_mfma_f32_16x16x32_fp8_fp8 v[148:151], a[146:147], a[34:35], v[148:151]// 00000000A99C: D3F30094 1E524592
	v_mfma_f32_16x16x32_fp8_fp8 v[148:151], a[148:149], a[36:37], v[148:151]// 00000000A9A4: D3F30094 1E524994
	v_mfma_f32_16x16x32_fp8_fp8 v[148:151], a[150:151], a[38:39], v[148:151]// 00000000A9AC: D3F30094 1E524D96
	v_mfma_f32_16x16x32_fp8_fp8 v[176:179], a[152:153], a[32:33], v[176:179]// 00000000A9B4: D3F300B0 1EC24198
	v_mfma_f32_16x16x32_fp8_fp8 v[176:179], a[154:155], a[34:35], v[176:179]// 00000000A9BC: D3F300B0 1EC2459A
	v_mfma_f32_16x16x32_fp8_fp8 v[176:179], a[156:157], a[36:37], v[176:179]// 00000000A9C4: D3F300B0 1EC2499C
	v_mfma_f32_16x16x32_fp8_fp8 v[176:179], a[158:159], a[38:39], v[176:179]// 00000000A9CC: D3F300B0 1EC24D9E
	v_mfma_f32_16x16x32_fp8_fp8 v[152:155], a[144:145], a[40:41], v[152:155]// 00000000A9D4: D3F30098 1E625190
	v_mfma_f32_16x16x32_fp8_fp8 v[152:155], a[146:147], a[42:43], v[152:155]// 00000000A9DC: D3F30098 1E625592
	v_mfma_f32_16x16x32_fp8_fp8 v[152:155], a[148:149], a[44:45], v[152:155]// 00000000A9E4: D3F30098 1E625994
	v_mfma_f32_16x16x32_fp8_fp8 v[152:155], a[150:151], a[46:47], v[152:155]// 00000000A9EC: D3F30098 1E625D96
	v_mfma_f32_16x16x32_fp8_fp8 v[180:183], a[152:153], a[40:41], v[180:183]// 00000000A9F4: D3F300B4 1ED25198
	v_mfma_f32_16x16x32_fp8_fp8 v[180:183], a[154:155], a[42:43], v[180:183]// 00000000A9FC: D3F300B4 1ED2559A
	v_mfma_f32_16x16x32_fp8_fp8 v[180:183], a[156:157], a[44:45], v[180:183]// 00000000AA04: D3F300B4 1ED2599C
	v_mfma_f32_16x16x32_fp8_fp8 v[180:183], a[158:159], a[46:47], v[180:183]// 00000000AA0C: D3F300B4 1ED25D9E
	v_mfma_f32_16x16x32_fp8_fp8 v[156:159], a[144:145], a[48:49], v[156:159]// 00000000AA14: D3F3009C 1E726190
	s_add_u32 s60, 0x180, s80                                  // 00000000AA1C: 803C50FF 00000180
	s_cmp_lt_u32 s60, s81                                      // 00000000AA24: BF0A513C
	s_cselect_b32 s57, s57, 0                                  // 00000000AA28: 85398039
	v_mfma_f32_16x16x32_fp8_fp8 v[156:159], a[146:147], a[50:51], v[156:159]// 00000000AA2C: D3F3009C 1E726592
	s_add_u32 s60, 0x100, s80                                  // 00000000AA34: 803C50FF 00000100
	s_cmp_lt_u32 s60, s81                                      // 00000000AA3C: BF0A513C
	s_cselect_b32 s58, s58, 0                                  // 00000000AA40: 853A803A
	v_mfma_f32_16x16x32_fp8_fp8 v[156:159], a[148:149], a[52:53], v[156:159]// 00000000AA44: D3F3009C 1E726994
	s_add_u32 s60, 0x100, s80                                  // 00000000AA4C: 803C50FF 00000100
	s_cmp_lt_u32 s60, s81                                      // 00000000AA54: BF0A513C
	s_cselect_b32 s83, s83, 0                                  // 00000000AA58: 85538053
	v_mfma_f32_16x16x32_fp8_fp8 v[156:159], a[150:151], a[54:55], v[156:159]// 00000000AA5C: D3F3009C 1E726D96
	s_add_u32 s24, s58, s24                                    // 00000000AA64: 8018183A
	s_addc_u32 s25, 0, s25                                     // 00000000AA68: 82191980
	v_mfma_f32_16x16x32_fp8_fp8 v[184:187], a[152:153], a[48:49], v[184:187]// 00000000AA6C: D3F300B8 1EE26198
	s_add_u32 s20, s57, s20                                    // 00000000AA74: 80141439
	s_addc_u32 s21, 0, s21                                     // 00000000AA78: 82151580
	v_mfma_f32_16x16x32_fp8_fp8 v[184:187], a[154:155], a[50:51], v[184:187]// 00000000AA7C: D3F300B8 1EE2659A
	s_add_u32 s84, s83, s84                                    // 00000000AA84: 80545453
	s_addc_u32 s85, 0, s85                                     // 00000000AA88: 82555580
	v_mfma_f32_16x16x32_fp8_fp8 v[184:187], a[156:157], a[52:53], v[184:187]// 00000000AA8C: D3F300B8 1EE2699C
	v_mfma_f32_16x16x32_fp8_fp8 v[184:187], a[158:159], a[54:55], v[184:187]// 00000000AA94: D3F300B8 1EE26D9E
	s_addk_i32 s80, 0x80                                       // 00000000AA9C: B7500080
	s_cmp_lt_i32 s80, s81                                      // 00000000AAA0: BF045150
	s_cbranch_scc0 label_243F                                  // 00000000AAA4: BF840412
	s_waitcnt vmcnt(18) lgkmcnt(0)                             // 00000000AAA8: BF8C4072
	v_mfma_f32_16x16x32_fp8_fp8 v[76:79], a[112:113], a[56:57], v[76:79]// 00000000AAAC: D3F3004C 1D327170
	buffer_load_dwordx4 a[144:147], v72, s[24:27], 0 offen     // 00000000AAB4: E05C1000 80869048
	v_mfma_f32_16x16x32_fp8_fp8 v[76:79], a[114:115], a[58:59], v[76:79]// 00000000AABC: D3F3004C 1D327572
	v_mfma_f32_16x16x32_fp8_fp8 v[76:79], a[116:117], a[60:61], v[76:79]// 00000000AAC4: D3F3004C 1D327974
	v_mfma_f32_16x16x32_fp8_fp8 v[76:79], a[118:119], a[62:63], v[76:79]// 00000000AACC: D3F3004C 1D327D76
	v_mfma_f32_16x16x32_fp8_fp8 v[104:107], a[120:121], a[56:57], v[104:107]// 00000000AAD4: D3F30068 1DA27178
	buffer_load_dwordx4 a[148:151], v72, s[24:27], 0 offen offset:1024// 00000000AADC: E05C1400 80869448
	v_mfma_f32_16x16x32_fp8_fp8 v[104:107], a[122:123], a[58:59], v[104:107]// 00000000AAE4: D3F30068 1DA2757A
	v_mfma_f32_16x16x32_fp8_fp8 v[104:107], a[124:125], a[60:61], v[104:107]// 00000000AAEC: D3F30068 1DA2797C
	v_mfma_f32_16x16x32_fp8_fp8 v[104:107], a[126:127], a[62:63], v[104:107]// 00000000AAF4: D3F30068 1DA27D7E
	v_mfma_f32_16x16x32_fp8_fp8 v[80:83], a[112:113], a[64:65], v[80:83]// 00000000AAFC: D3F30050 1D428170
	buffer_load_dwordx4 a[152:155], v73, s[24:27], 0 offen     // 00000000AB04: E05C1000 80869849
	v_mfma_f32_16x16x32_fp8_fp8 v[80:83], a[114:115], a[66:67], v[80:83]// 00000000AB0C: D3F30050 1D428572
	v_mfma_f32_16x16x32_fp8_fp8 v[80:83], a[116:117], a[68:69], v[80:83]// 00000000AB14: D3F30050 1D428974
	v_mfma_f32_16x16x32_fp8_fp8 v[80:83], a[118:119], a[70:71], v[80:83]// 00000000AB1C: D3F30050 1D428D76
	v_mfma_f32_16x16x32_fp8_fp8 v[108:111], a[120:121], a[64:65], v[108:111]// 00000000AB24: D3F3006C 1DB28178
	buffer_load_dwordx4 a[156:159], v73, s[24:27], 0 offen offset:1024// 00000000AB2C: E05C1400 80869C49
	buffer_load_dword v58, s[20:23], 0 offen lds               // 00000000AB34: E0511000 8005003A
	s_add_u32 m0, 0x100, s50                                   // 00000000AB3C: 807C32FF 00000100
	v_mfma_f32_16x16x32_fp8_fp8 v[108:111], a[122:123], a[66:67], v[108:111]// 00000000AB44: D3F3006C 1DB2857A
	v_mfma_f32_16x16x32_fp8_fp8 v[108:111], a[124:125], a[68:69], v[108:111]// 00000000AB4C: D3F3006C 1DB2897C
	buffer_load_dword v59, s[20:23], 0 offen lds               // 00000000AB54: E0511000 8005003B
	s_add_u32 m0, 0x200, s50                                   // 00000000AB5C: 807C32FF 00000200
	v_mfma_f32_16x16x32_fp8_fp8 v[108:111], a[126:127], a[70:71], v[108:111]// 00000000AB64: D3F3006C 1DB28D7E
	v_mfma_f32_16x16x32_fp8_fp8 v[84:87], a[112:113], a[72:73], v[84:87]// 00000000AB6C: D3F30054 1D529170
	buffer_load_dword v60, s[20:23], 0 offen lds               // 00000000AB74: E0511000 8005003C
	s_add_u32 m0, 0x300, s50                                   // 00000000AB7C: 807C32FF 00000300
	v_mfma_f32_16x16x32_fp8_fp8 v[84:87], a[114:115], a[74:75], v[84:87]// 00000000AB84: D3F30054 1D529572
	v_mfma_f32_16x16x32_fp8_fp8 v[84:87], a[116:117], a[76:77], v[84:87]// 00000000AB8C: D3F30054 1D529974
	buffer_load_dword v61, s[20:23], 0 offen lds               // 00000000AB94: E0511000 8005003D
	s_add_u32 m0, 0x400, s50                                   // 00000000AB9C: 807C32FF 00000400
	v_mfma_f32_16x16x32_fp8_fp8 v[84:87], a[118:119], a[78:79], v[84:87]// 00000000ABA4: D3F30054 1D529D76
	v_mfma_f32_16x16x32_fp8_fp8 v[112:115], a[120:121], a[72:73], v[112:115]// 00000000ABAC: D3F30070 1DC29178
	buffer_load_dword v62, s[20:23], 0 offen lds               // 00000000ABB4: E0511000 8005003E
	s_add_u32 m0, 0x500, s50                                   // 00000000ABBC: 807C32FF 00000500
	v_mfma_f32_16x16x32_fp8_fp8 v[112:115], a[122:123], a[74:75], v[112:115]// 00000000ABC4: D3F30070 1DC2957A
	v_mfma_f32_16x16x32_fp8_fp8 v[112:115], a[124:125], a[76:77], v[112:115]// 00000000ABCC: D3F30070 1DC2997C
	buffer_load_dword v63, s[20:23], 0 offen lds               // 00000000ABD4: E0511000 8005003F
	s_add_u32 m0, 0x600, s50                                   // 00000000ABDC: 807C32FF 00000600
	v_mfma_f32_16x16x32_fp8_fp8 v[112:115], a[126:127], a[78:79], v[112:115]// 00000000ABE4: D3F30070 1DC29D7E
	v_mfma_f32_16x16x32_fp8_fp8 v[88:91], a[112:113], a[80:81], v[88:91]// 00000000ABEC: D3F30058 1D62A170
	buffer_load_dword v64, s[20:23], 0 offen lds               // 00000000ABF4: E0511000 80050040
	s_add_u32 m0, 0x700, s50                                   // 00000000ABFC: 807C32FF 00000700
	v_mfma_f32_16x16x32_fp8_fp8 v[88:91], a[114:115], a[82:83], v[88:91]// 00000000AC04: D3F30058 1D62A572
	v_mfma_f32_16x16x32_fp8_fp8 v[88:91], a[116:117], a[84:85], v[88:91]// 00000000AC0C: D3F30058 1D62A974
	buffer_load_dword v65, s[20:23], 0 offen lds               // 00000000AC14: E0511000 80050041
	s_add_u32 m0, 0x800, s50                                   // 00000000AC1C: 807C32FF 00000800
	v_mfma_f32_16x16x32_fp8_fp8 v[88:91], a[118:119], a[86:87], v[88:91]// 00000000AC24: D3F30058 1D62AD76
	v_mfma_f32_16x16x32_fp8_fp8 v[116:119], a[120:121], a[80:81], v[116:119]// 00000000AC2C: D3F30074 1DD2A178
	buffer_load_dword v66, s[20:23], 0 offen lds               // 00000000AC34: E0511000 80050042
	s_add_u32 m0, 0x900, s50                                   // 00000000AC3C: 807C32FF 00000900
	v_mfma_f32_16x16x32_fp8_fp8 v[116:119], a[122:123], a[82:83], v[116:119]// 00000000AC44: D3F30074 1DD2A57A
	v_mfma_f32_16x16x32_fp8_fp8 v[116:119], a[124:125], a[84:85], v[116:119]// 00000000AC4C: D3F30074 1DD2A97C
	buffer_load_dword v67, s[20:23], 0 offen lds               // 00000000AC54: E0511000 80050043
	s_add_u32 m0, 0xa00, s50                                   // 00000000AC5C: 807C32FF 00000A00
	v_mfma_f32_16x16x32_fp8_fp8 v[116:119], a[126:127], a[86:87], v[116:119]// 00000000AC64: D3F30074 1DD2AD7E
	v_mfma_f32_16x16x32_fp8_fp8 v[92:95], a[112:113], a[88:89], v[92:95]// 00000000AC6C: D3F3005C 1D72B170
	buffer_load_dword v68, s[20:23], 0 offen lds               // 00000000AC74: E0511000 80050044
	s_add_u32 m0, 0xb00, s50                                   // 00000000AC7C: 807C32FF 00000B00
	v_mfma_f32_16x16x32_fp8_fp8 v[92:95], a[114:115], a[90:91], v[92:95]// 00000000AC84: D3F3005C 1D72B572
	v_mfma_f32_16x16x32_fp8_fp8 v[92:95], a[116:117], a[92:93], v[92:95]// 00000000AC8C: D3F3005C 1D72B974
	buffer_load_dword v69, s[20:23], 0 offen lds               // 00000000AC94: E0511000 80050045
	s_add_u32 m0, 0xc00, s50                                   // 00000000AC9C: 807C32FF 00000C00
	v_mfma_f32_16x16x32_fp8_fp8 v[92:95], a[118:119], a[94:95], v[92:95]// 00000000ACA4: D3F3005C 1D72BD76
	v_mfma_f32_16x16x32_fp8_fp8 v[120:123], a[120:121], a[88:89], v[120:123]// 00000000ACAC: D3F30078 1DE2B178
	buffer_load_dword v70, s[20:23], 0 offen lds               // 00000000ACB4: E0511000 80050046
	s_add_u32 m0, 0xd00, s50                                   // 00000000ACBC: 807C32FF 00000D00
	v_mfma_f32_16x16x32_fp8_fp8 v[120:123], a[122:123], a[90:91], v[120:123]// 00000000ACC4: D3F30078 1DE2B57A
	v_mfma_f32_16x16x32_fp8_fp8 v[120:123], a[124:125], a[92:93], v[120:123]// 00000000ACCC: D3F30078 1DE2B97C
	buffer_load_dword v71, s[20:23], 0 offen lds               // 00000000ACD4: E0511000 80050047
	s_add_u32 m0, 0, s48                                       // 00000000ACDC: 807C3080
	v_mfma_f32_16x16x32_fp8_fp8 v[120:123], a[126:127], a[94:95], v[120:123]// 00000000ACE0: D3F30078 1DE2BD7E
	v_mfma_f32_16x16x32_fp8_fp8 v[96:99], a[112:113], a[96:97], v[96:99]// 00000000ACE8: D3F30060 1D82C170
	v_mfma_f32_16x16x32_fp8_fp8 v[96:99], a[114:115], a[98:99], v[96:99]// 00000000ACF0: D3F30060 1D82C572
	v_mfma_f32_16x16x32_fp8_fp8 v[96:99], a[116:117], a[100:101], v[96:99]// 00000000ACF8: D3F30060 1D82C974
	v_mfma_f32_16x16x32_fp8_fp8 v[96:99], a[118:119], a[102:103], v[96:99]// 00000000AD00: D3F30060 1D82CD76
	v_mfma_f32_16x16x32_fp8_fp8 v[124:127], a[120:121], a[96:97], v[124:127]// 00000000AD08: D3F3007C 1DF2C178
	v_mfma_f32_16x16x32_fp8_fp8 v[124:127], a[122:123], a[98:99], v[124:127]// 00000000AD10: D3F3007C 1DF2C57A
	v_mfma_f32_16x16x32_fp8_fp8 v[124:127], a[124:125], a[100:101], v[124:127]// 00000000AD18: D3F3007C 1DF2C97C
	v_mfma_f32_16x16x32_fp8_fp8 v[124:127], a[126:127], a[102:103], v[124:127]// 00000000AD20: D3F3007C 1DF2CD7E
	v_mfma_f32_16x16x32_fp8_fp8 v[100:103], a[112:113], a[104:105], v[100:103]// 00000000AD28: D3F30064 1D92D170
	v_mfma_f32_16x16x32_fp8_fp8 v[100:103], a[114:115], a[106:107], v[100:103]// 00000000AD30: D3F30064 1D92D572
	v_mfma_f32_16x16x32_fp8_fp8 v[100:103], a[116:117], a[108:109], v[100:103]// 00000000AD38: D3F30064 1D92D974
	v_mfma_f32_16x16x32_fp8_fp8 v[100:103], a[118:119], a[110:111], v[100:103]// 00000000AD40: D3F30064 1D92DD76
	v_mfma_f32_16x16x32_fp8_fp8 v[128:131], a[120:121], a[104:105], v[128:131]// 00000000AD48: D3F30080 1E02D178
	v_mfma_f32_16x16x32_fp8_fp8 v[128:131], a[122:123], a[106:107], v[128:131]// 00000000AD50: D3F30080 1E02D57A
	v_mfma_f32_16x16x32_fp8_fp8 v[128:131], a[124:125], a[108:109], v[128:131]// 00000000AD58: D3F30080 1E02D97C
	v_mfma_f32_16x16x32_fp8_fp8 v[128:131], a[126:127], a[110:111], v[128:131]// 00000000AD60: D3F30080 1E02DD7E
	s_waitcnt vmcnt(18)                                        // 00000000AD68: BF8C4F72
	s_barrier                                                  // 00000000AD6C: BF8A0000
	v_mfma_f32_16x16x32_fp8_fp8 v[132:135], a[128:129], a[56:57], v[132:135]// 00000000AD70: D3F30084 1E127180
	buffer_load_dwordx4 a[112:115], v72, s[84:87], 0 offen     // 00000000AD78: E05C1000 80957048
	v_mfma_f32_16x16x32_fp8_fp8 v[132:135], a[130:131], a[58:59], v[132:135]// 00000000AD80: D3F30084 1E127582
	v_mfma_f32_16x16x32_fp8_fp8 v[132:135], a[132:133], a[60:61], v[132:135]// 00000000AD88: D3F30084 1E127984
	ds_read_b128 a[0:3], v2 offset:14464                       // 00000000AD90: DBFE3880 00000002
	ds_read_b128 a[4:7], v2 offset:14528                       // 00000000AD98: DBFE38C0 04000002
	v_mfma_f32_16x16x32_fp8_fp8 v[132:135], a[134:135], a[62:63], v[132:135]// 00000000ADA0: D3F30084 1E127D86
	v_mfma_f32_16x16x32_fp8_fp8 v[160:163], a[136:137], a[56:57], v[160:163]// 00000000ADA8: D3F300A0 1E827188
	buffer_load_dwordx4 a[116:119], v72, s[84:87], 0 offen offset:1024// 00000000ADB0: E05C1400 80957448
	v_mfma_f32_16x16x32_fp8_fp8 v[160:163], a[138:139], a[58:59], v[160:163]// 00000000ADB8: D3F300A0 1E82758A
	v_mfma_f32_16x16x32_fp8_fp8 v[160:163], a[140:141], a[60:61], v[160:163]// 00000000ADC0: D3F300A0 1E82798C
	ds_read_b128 a[8:11], v2 offset:14976                      // 00000000ADC8: DBFE3A80 08000002
	ds_read_b128 a[12:15], v2 offset:15040                     // 00000000ADD0: DBFE3AC0 0C000002
	v_mfma_f32_16x16x32_fp8_fp8 v[160:163], a[142:143], a[62:63], v[160:163]// 00000000ADD8: D3F300A0 1E827D8E
	v_mfma_f32_16x16x32_fp8_fp8 v[136:139], a[128:129], a[64:65], v[136:139]// 00000000ADE0: D3F30088 1E228180
	buffer_load_dwordx4 a[120:123], v73, s[84:87], 0 offen     // 00000000ADE8: E05C1000 80957849
	v_mfma_f32_16x16x32_fp8_fp8 v[136:139], a[130:131], a[66:67], v[136:139]// 00000000ADF0: D3F30088 1E228582
	v_mfma_f32_16x16x32_fp8_fp8 v[136:139], a[132:133], a[68:69], v[136:139]// 00000000ADF8: D3F30088 1E228984
	ds_read_b128 a[16:19], v2 offset:15488                     // 00000000AE00: DBFE3C80 10000002
	ds_read_b128 a[20:23], v2 offset:15552                     // 00000000AE08: DBFE3CC0 14000002
	v_mfma_f32_16x16x32_fp8_fp8 v[136:139], a[134:135], a[70:71], v[136:139]// 00000000AE10: D3F30088 1E228D86
	v_mfma_f32_16x16x32_fp8_fp8 v[164:167], a[136:137], a[64:65], v[164:167]// 00000000AE18: D3F300A4 1E928188
	buffer_load_dwordx4 a[124:127], v73, s[84:87], 0 offen offset:1024// 00000000AE20: E05C1400 80957C49
	v_mfma_f32_16x16x32_fp8_fp8 v[164:167], a[138:139], a[66:67], v[164:167]// 00000000AE28: D3F300A4 1E92858A
	v_mfma_f32_16x16x32_fp8_fp8 v[164:167], a[140:141], a[68:69], v[164:167]// 00000000AE30: D3F300A4 1E92898C
	ds_read_b128 a[24:27], v2 offset:16000                     // 00000000AE38: DBFE3E80 18000002
	ds_read_b128 a[28:31], v2 offset:16064                     // 00000000AE40: DBFE3EC0 1C000002
	v_mfma_f32_16x16x32_fp8_fp8 v[164:167], a[142:143], a[70:71], v[164:167]// 00000000AE48: D3F300A4 1E928D8E
	v_mfma_f32_16x16x32_fp8_fp8 v[140:143], a[128:129], a[72:73], v[140:143]// 00000000AE50: D3F3008C 1E329180
	v_mfma_f32_16x16x32_fp8_fp8 v[140:143], a[130:131], a[74:75], v[140:143]// 00000000AE58: D3F3008C 1E329582
	v_mfma_f32_16x16x32_fp8_fp8 v[140:143], a[132:133], a[76:77], v[140:143]// 00000000AE60: D3F3008C 1E329984
	ds_read_b128 a[32:35], v2 offset:16512                     // 00000000AE68: DBFE4080 20000002
	ds_read_b128 a[36:39], v2 offset:16576                     // 00000000AE70: DBFE40C0 24000002
	v_mfma_f32_16x16x32_fp8_fp8 v[140:143], a[134:135], a[78:79], v[140:143]// 00000000AE78: D3F3008C 1E329D86
	v_mfma_f32_16x16x32_fp8_fp8 v[168:171], a[136:137], a[72:73], v[168:171]// 00000000AE80: D3F300A8 1EA29188
	v_mfma_f32_16x16x32_fp8_fp8 v[168:171], a[138:139], a[74:75], v[168:171]// 00000000AE88: D3F300A8 1EA2958A
	v_mfma_f32_16x16x32_fp8_fp8 v[168:171], a[140:141], a[76:77], v[168:171]// 00000000AE90: D3F300A8 1EA2998C
	ds_read_b128 a[40:43], v2 offset:17024                     // 00000000AE98: DBFE4280 28000002
	ds_read_b128 a[44:47], v2 offset:17088                     // 00000000AEA0: DBFE42C0 2C000002
	v_mfma_f32_16x16x32_fp8_fp8 v[168:171], a[142:143], a[78:79], v[168:171]// 00000000AEA8: D3F300A8 1EA29D8E
	v_mfma_f32_16x16x32_fp8_fp8 v[144:147], a[128:129], a[80:81], v[144:147]// 00000000AEB0: D3F30090 1E42A180
	v_mfma_f32_16x16x32_fp8_fp8 v[144:147], a[130:131], a[82:83], v[144:147]// 00000000AEB8: D3F30090 1E42A582
	v_mfma_f32_16x16x32_fp8_fp8 v[144:147], a[132:133], a[84:85], v[144:147]// 00000000AEC0: D3F30090 1E42A984
	ds_read_b128 a[48:51], v2 offset:17536                     // 00000000AEC8: DBFE4480 30000002
	ds_read_b128 a[52:55], v2 offset:17600                     // 00000000AED0: DBFE44C0 34000002
	v_mfma_f32_16x16x32_fp8_fp8 v[144:147], a[134:135], a[86:87], v[144:147]// 00000000AED8: D3F30090 1E42AD86
	v_mfma_f32_16x16x32_fp8_fp8 v[172:175], a[136:137], a[80:81], v[172:175]// 00000000AEE0: D3F300AC 1EB2A188
	v_mfma_f32_16x16x32_fp8_fp8 v[172:175], a[138:139], a[82:83], v[172:175]// 00000000AEE8: D3F300AC 1EB2A58A
	v_mfma_f32_16x16x32_fp8_fp8 v[172:175], a[140:141], a[84:85], v[172:175]// 00000000AEF0: D3F300AC 1EB2A98C
	v_mfma_f32_16x16x32_fp8_fp8 v[172:175], a[142:143], a[86:87], v[172:175]// 00000000AEF8: D3F300AC 1EB2AD8E
	v_mfma_f32_16x16x32_fp8_fp8 v[148:151], a[128:129], a[88:89], v[148:151]// 00000000AF00: D3F30094 1E52B180
	v_mfma_f32_16x16x32_fp8_fp8 v[148:151], a[130:131], a[90:91], v[148:151]// 00000000AF08: D3F30094 1E52B582
	v_mfma_f32_16x16x32_fp8_fp8 v[148:151], a[132:133], a[92:93], v[148:151]// 00000000AF10: D3F30094 1E52B984
	v_mfma_f32_16x16x32_fp8_fp8 v[148:151], a[134:135], a[94:95], v[148:151]// 00000000AF18: D3F30094 1E52BD86
	v_mfma_f32_16x16x32_fp8_fp8 v[176:179], a[136:137], a[88:89], v[176:179]// 00000000AF20: D3F300B0 1EC2B188
	v_mfma_f32_16x16x32_fp8_fp8 v[176:179], a[138:139], a[90:91], v[176:179]// 00000000AF28: D3F300B0 1EC2B58A
	v_mfma_f32_16x16x32_fp8_fp8 v[176:179], a[140:141], a[92:93], v[176:179]// 00000000AF30: D3F300B0 1EC2B98C
	v_mfma_f32_16x16x32_fp8_fp8 v[176:179], a[142:143], a[94:95], v[176:179]// 00000000AF38: D3F300B0 1EC2BD8E
	v_mfma_f32_16x16x32_fp8_fp8 v[152:155], a[128:129], a[96:97], v[152:155]// 00000000AF40: D3F30098 1E62C180
	v_mfma_f32_16x16x32_fp8_fp8 v[152:155], a[130:131], a[98:99], v[152:155]// 00000000AF48: D3F30098 1E62C582
	v_mfma_f32_16x16x32_fp8_fp8 v[152:155], a[132:133], a[100:101], v[152:155]// 00000000AF50: D3F30098 1E62C984
	v_mfma_f32_16x16x32_fp8_fp8 v[152:155], a[134:135], a[102:103], v[152:155]// 00000000AF58: D3F30098 1E62CD86
	v_mfma_f32_16x16x32_fp8_fp8 v[180:183], a[136:137], a[96:97], v[180:183]// 00000000AF60: D3F300B4 1ED2C188
	v_mfma_f32_16x16x32_fp8_fp8 v[180:183], a[138:139], a[98:99], v[180:183]// 00000000AF68: D3F300B4 1ED2C58A
	v_mfma_f32_16x16x32_fp8_fp8 v[180:183], a[140:141], a[100:101], v[180:183]// 00000000AF70: D3F300B4 1ED2C98C
	v_mfma_f32_16x16x32_fp8_fp8 v[180:183], a[142:143], a[102:103], v[180:183]// 00000000AF78: D3F300B4 1ED2CD8E
	v_mfma_f32_16x16x32_fp8_fp8 v[156:159], a[128:129], a[104:105], v[156:159]// 00000000AF80: D3F3009C 1E72D180
	s_add_u32 s60, 0x180, s80                                  // 00000000AF88: 803C50FF 00000180
	s_cmp_lt_u32 s60, s81                                      // 00000000AF90: BF0A513C
	s_cselect_b32 s57, s57, 0                                  // 00000000AF94: 85398039
	v_mfma_f32_16x16x32_fp8_fp8 v[156:159], a[130:131], a[106:107], v[156:159]// 00000000AF98: D3F3009C 1E72D582
	s_add_u32 s60, 0x100, s80                                  // 00000000AFA0: 803C50FF 00000100
	s_cmp_lt_u32 s60, s81                                      // 00000000AFA8: BF0A513C
	s_cselect_b32 s58, s58, 0                                  // 00000000AFAC: 853A803A
	v_mfma_f32_16x16x32_fp8_fp8 v[156:159], a[132:133], a[108:109], v[156:159]// 00000000AFB0: D3F3009C 1E72D984
	s_add_u32 s60, 0x100, s80                                  // 00000000AFB8: 803C50FF 00000100
	s_cmp_lt_u32 s60, s81                                      // 00000000AFC0: BF0A513C
	s_cselect_b32 s83, s83, 0                                  // 00000000AFC4: 85538053
	v_mfma_f32_16x16x32_fp8_fp8 v[156:159], a[134:135], a[110:111], v[156:159]// 00000000AFC8: D3F3009C 1E72DD86
	s_add_u32 s24, s58, s24                                    // 00000000AFD0: 8018183A
	s_addc_u32 s25, 0, s25                                     // 00000000AFD4: 82191980
	v_mfma_f32_16x16x32_fp8_fp8 v[184:187], a[136:137], a[104:105], v[184:187]// 00000000AFD8: D3F300B8 1EE2D188
	s_add_u32 s20, s57, s20                                    // 00000000AFE0: 80141439
	s_addc_u32 s21, 0, s21                                     // 00000000AFE4: 82151580
	v_mfma_f32_16x16x32_fp8_fp8 v[184:187], a[138:139], a[106:107], v[184:187]// 00000000AFE8: D3F300B8 1EE2D58A
	s_add_u32 s84, s83, s84                                    // 00000000AFF0: 80545453
	s_addc_u32 s85, 0, s85                                     // 00000000AFF4: 82555580
	v_mfma_f32_16x16x32_fp8_fp8 v[184:187], a[140:141], a[108:109], v[184:187]// 00000000AFF8: D3F300B8 1EE2D98C
	v_mfma_f32_16x16x32_fp8_fp8 v[184:187], a[142:143], a[110:111], v[184:187]// 00000000B000: D3F300B8 1EE2DD8E
	s_addk_i32 s80, 0x80                                       // 00000000B008: B7500080
	s_cmp_lt_i32 s80, s81                                      // 00000000B00C: BF045150
	s_cbranch_scc0 label_243F                                  // 00000000B010: BF8402B7
	s_waitcnt vmcnt(18) lgkmcnt(0)                             // 00000000B014: BF8C4072
	v_mfma_f32_16x16x32_fp8_fp8 v[76:79], a[144:145], a[0:1], v[76:79]// 00000000B018: D3F3004C 1D320190
	buffer_load_dwordx4 a[128:131], v72, s[24:27], 0 offen     // 00000000B020: E05C1000 80868048
	v_mfma_f32_16x16x32_fp8_fp8 v[76:79], a[146:147], a[2:3], v[76:79]// 00000000B028: D3F3004C 1D320592
	v_mfma_f32_16x16x32_fp8_fp8 v[76:79], a[148:149], a[4:5], v[76:79]// 00000000B030: D3F3004C 1D320994
	v_mfma_f32_16x16x32_fp8_fp8 v[76:79], a[150:151], a[6:7], v[76:79]// 00000000B038: D3F3004C 1D320D96
	v_mfma_f32_16x16x32_fp8_fp8 v[104:107], a[152:153], a[0:1], v[104:107]// 00000000B040: D3F30068 1DA20198
	buffer_load_dwordx4 a[132:135], v72, s[24:27], 0 offen offset:1024// 00000000B048: E05C1400 80868448
	v_mfma_f32_16x16x32_fp8_fp8 v[104:107], a[154:155], a[2:3], v[104:107]// 00000000B050: D3F30068 1DA2059A
	v_mfma_f32_16x16x32_fp8_fp8 v[104:107], a[156:157], a[4:5], v[104:107]// 00000000B058: D3F30068 1DA2099C
	v_mfma_f32_16x16x32_fp8_fp8 v[104:107], a[158:159], a[6:7], v[104:107]// 00000000B060: D3F30068 1DA20D9E
	v_mfma_f32_16x16x32_fp8_fp8 v[80:83], a[144:145], a[8:9], v[80:83]// 00000000B068: D3F30050 1D421190
	buffer_load_dwordx4 a[136:139], v73, s[24:27], 0 offen     // 00000000B070: E05C1000 80868849
	v_mfma_f32_16x16x32_fp8_fp8 v[80:83], a[146:147], a[10:11], v[80:83]// 00000000B078: D3F30050 1D421592
	v_mfma_f32_16x16x32_fp8_fp8 v[80:83], a[148:149], a[12:13], v[80:83]// 00000000B080: D3F30050 1D421994
	v_mfma_f32_16x16x32_fp8_fp8 v[80:83], a[150:151], a[14:15], v[80:83]// 00000000B088: D3F30050 1D421D96
	v_mfma_f32_16x16x32_fp8_fp8 v[108:111], a[152:153], a[8:9], v[108:111]// 00000000B090: D3F3006C 1DB21198
	buffer_load_dwordx4 a[140:143], v73, s[24:27], 0 offen offset:1024// 00000000B098: E05C1400 80868C49
	buffer_load_dword v58, s[20:23], 0 offen lds               // 00000000B0A0: E0511000 8005003A
	s_add_u32 m0, 0x100, s48                                   // 00000000B0A8: 807C30FF 00000100
	v_mfma_f32_16x16x32_fp8_fp8 v[108:111], a[154:155], a[10:11], v[108:111]// 00000000B0B0: D3F3006C 1DB2159A
	v_mfma_f32_16x16x32_fp8_fp8 v[108:111], a[156:157], a[12:13], v[108:111]// 00000000B0B8: D3F3006C 1DB2199C
	buffer_load_dword v59, s[20:23], 0 offen lds               // 00000000B0C0: E0511000 8005003B
	s_add_u32 m0, 0x200, s48                                   // 00000000B0C8: 807C30FF 00000200
	v_mfma_f32_16x16x32_fp8_fp8 v[108:111], a[158:159], a[14:15], v[108:111]// 00000000B0D0: D3F3006C 1DB21D9E
	v_mfma_f32_16x16x32_fp8_fp8 v[84:87], a[144:145], a[16:17], v[84:87]// 00000000B0D8: D3F30054 1D522190
	buffer_load_dword v60, s[20:23], 0 offen lds               // 00000000B0E0: E0511000 8005003C
	s_add_u32 m0, 0x300, s48                                   // 00000000B0E8: 807C30FF 00000300
	v_mfma_f32_16x16x32_fp8_fp8 v[84:87], a[146:147], a[18:19], v[84:87]// 00000000B0F0: D3F30054 1D522592
	v_mfma_f32_16x16x32_fp8_fp8 v[84:87], a[148:149], a[20:21], v[84:87]// 00000000B0F8: D3F30054 1D522994
	buffer_load_dword v61, s[20:23], 0 offen lds               // 00000000B100: E0511000 8005003D
	s_add_u32 m0, 0x400, s48                                   // 00000000B108: 807C30FF 00000400
	v_mfma_f32_16x16x32_fp8_fp8 v[84:87], a[150:151], a[22:23], v[84:87]// 00000000B110: D3F30054 1D522D96
	v_mfma_f32_16x16x32_fp8_fp8 v[112:115], a[152:153], a[16:17], v[112:115]// 00000000B118: D3F30070 1DC22198
	buffer_load_dword v62, s[20:23], 0 offen lds               // 00000000B120: E0511000 8005003E
	s_add_u32 m0, 0x500, s48                                   // 00000000B128: 807C30FF 00000500
	v_mfma_f32_16x16x32_fp8_fp8 v[112:115], a[154:155], a[18:19], v[112:115]// 00000000B130: D3F30070 1DC2259A
	v_mfma_f32_16x16x32_fp8_fp8 v[112:115], a[156:157], a[20:21], v[112:115]// 00000000B138: D3F30070 1DC2299C
	buffer_load_dword v63, s[20:23], 0 offen lds               // 00000000B140: E0511000 8005003F
	s_add_u32 m0, 0x600, s48                                   // 00000000B148: 807C30FF 00000600
	v_mfma_f32_16x16x32_fp8_fp8 v[112:115], a[158:159], a[22:23], v[112:115]// 00000000B150: D3F30070 1DC22D9E
	v_mfma_f32_16x16x32_fp8_fp8 v[88:91], a[144:145], a[24:25], v[88:91]// 00000000B158: D3F30058 1D623190
	buffer_load_dword v64, s[20:23], 0 offen lds               // 00000000B160: E0511000 80050040
	s_add_u32 m0, 0x700, s48                                   // 00000000B168: 807C30FF 00000700
	v_mfma_f32_16x16x32_fp8_fp8 v[88:91], a[146:147], a[26:27], v[88:91]// 00000000B170: D3F30058 1D623592
	v_mfma_f32_16x16x32_fp8_fp8 v[88:91], a[148:149], a[28:29], v[88:91]// 00000000B178: D3F30058 1D623994
	buffer_load_dword v65, s[20:23], 0 offen lds               // 00000000B180: E0511000 80050041
	s_add_u32 m0, 0x800, s48                                   // 00000000B188: 807C30FF 00000800
	v_mfma_f32_16x16x32_fp8_fp8 v[88:91], a[150:151], a[30:31], v[88:91]// 00000000B190: D3F30058 1D623D96
	v_mfma_f32_16x16x32_fp8_fp8 v[116:119], a[152:153], a[24:25], v[116:119]// 00000000B198: D3F30074 1DD23198
	buffer_load_dword v66, s[20:23], 0 offen lds               // 00000000B1A0: E0511000 80050042
	s_add_u32 m0, 0x900, s48                                   // 00000000B1A8: 807C30FF 00000900
	v_mfma_f32_16x16x32_fp8_fp8 v[116:119], a[154:155], a[26:27], v[116:119]// 00000000B1B0: D3F30074 1DD2359A
	v_mfma_f32_16x16x32_fp8_fp8 v[116:119], a[156:157], a[28:29], v[116:119]// 00000000B1B8: D3F30074 1DD2399C
	buffer_load_dword v67, s[20:23], 0 offen lds               // 00000000B1C0: E0511000 80050043
	s_add_u32 m0, 0xa00, s48                                   // 00000000B1C8: 807C30FF 00000A00
	v_mfma_f32_16x16x32_fp8_fp8 v[116:119], a[158:159], a[30:31], v[116:119]// 00000000B1D0: D3F30074 1DD23D9E
	v_mfma_f32_16x16x32_fp8_fp8 v[92:95], a[144:145], a[32:33], v[92:95]// 00000000B1D8: D3F3005C 1D724190
	buffer_load_dword v68, s[20:23], 0 offen lds               // 00000000B1E0: E0511000 80050044
	s_add_u32 m0, 0xb00, s48                                   // 00000000B1E8: 807C30FF 00000B00
	v_mfma_f32_16x16x32_fp8_fp8 v[92:95], a[146:147], a[34:35], v[92:95]// 00000000B1F0: D3F3005C 1D724592
	v_mfma_f32_16x16x32_fp8_fp8 v[92:95], a[148:149], a[36:37], v[92:95]// 00000000B1F8: D3F3005C 1D724994
	buffer_load_dword v69, s[20:23], 0 offen lds               // 00000000B200: E0511000 80050045
	s_add_u32 m0, 0xc00, s48                                   // 00000000B208: 807C30FF 00000C00
	v_mfma_f32_16x16x32_fp8_fp8 v[92:95], a[150:151], a[38:39], v[92:95]// 00000000B210: D3F3005C 1D724D96
	v_mfma_f32_16x16x32_fp8_fp8 v[120:123], a[152:153], a[32:33], v[120:123]// 00000000B218: D3F30078 1DE24198
	buffer_load_dword v70, s[20:23], 0 offen lds               // 00000000B220: E0511000 80050046
	s_add_u32 m0, 0xd00, s48                                   // 00000000B228: 807C30FF 00000D00
	v_mfma_f32_16x16x32_fp8_fp8 v[120:123], a[154:155], a[34:35], v[120:123]// 00000000B230: D3F30078 1DE2459A
	v_mfma_f32_16x16x32_fp8_fp8 v[120:123], a[156:157], a[36:37], v[120:123]// 00000000B238: D3F30078 1DE2499C
	buffer_load_dword v71, s[20:23], 0 offen lds               // 00000000B240: E0511000 80050047
	s_add_u32 m0, 0, s49                                       // 00000000B248: 807C3180
	v_mfma_f32_16x16x32_fp8_fp8 v[120:123], a[158:159], a[38:39], v[120:123]// 00000000B24C: D3F30078 1DE24D9E
	v_mfma_f32_16x16x32_fp8_fp8 v[96:99], a[144:145], a[40:41], v[96:99]// 00000000B254: D3F30060 1D825190
	v_mfma_f32_16x16x32_fp8_fp8 v[96:99], a[146:147], a[42:43], v[96:99]// 00000000B25C: D3F30060 1D825592
	v_mfma_f32_16x16x32_fp8_fp8 v[96:99], a[148:149], a[44:45], v[96:99]// 00000000B264: D3F30060 1D825994
	v_mfma_f32_16x16x32_fp8_fp8 v[96:99], a[150:151], a[46:47], v[96:99]// 00000000B26C: D3F30060 1D825D96
	v_mfma_f32_16x16x32_fp8_fp8 v[124:127], a[152:153], a[40:41], v[124:127]// 00000000B274: D3F3007C 1DF25198
	v_mfma_f32_16x16x32_fp8_fp8 v[124:127], a[154:155], a[42:43], v[124:127]// 00000000B27C: D3F3007C 1DF2559A
	v_mfma_f32_16x16x32_fp8_fp8 v[124:127], a[156:157], a[44:45], v[124:127]// 00000000B284: D3F3007C 1DF2599C
	v_mfma_f32_16x16x32_fp8_fp8 v[124:127], a[158:159], a[46:47], v[124:127]// 00000000B28C: D3F3007C 1DF25D9E
	v_mfma_f32_16x16x32_fp8_fp8 v[100:103], a[144:145], a[48:49], v[100:103]// 00000000B294: D3F30064 1D926190
	v_mfma_f32_16x16x32_fp8_fp8 v[100:103], a[146:147], a[50:51], v[100:103]// 00000000B29C: D3F30064 1D926592
	v_mfma_f32_16x16x32_fp8_fp8 v[100:103], a[148:149], a[52:53], v[100:103]// 00000000B2A4: D3F30064 1D926994
	v_mfma_f32_16x16x32_fp8_fp8 v[100:103], a[150:151], a[54:55], v[100:103]// 00000000B2AC: D3F30064 1D926D96
	v_mfma_f32_16x16x32_fp8_fp8 v[128:131], a[152:153], a[48:49], v[128:131]// 00000000B2B4: D3F30080 1E026198
	v_mfma_f32_16x16x32_fp8_fp8 v[128:131], a[154:155], a[50:51], v[128:131]// 00000000B2BC: D3F30080 1E02659A
	v_mfma_f32_16x16x32_fp8_fp8 v[128:131], a[156:157], a[52:53], v[128:131]// 00000000B2C4: D3F30080 1E02699C
	v_mfma_f32_16x16x32_fp8_fp8 v[128:131], a[158:159], a[54:55], v[128:131]// 00000000B2CC: D3F30080 1E026D9E
	s_waitcnt vmcnt(18)                                        // 00000000B2D4: BF8C4F72
	s_barrier                                                  // 00000000B2D8: BF8A0000
	v_mfma_f32_16x16x32_fp8_fp8 v[132:135], a[112:113], a[0:1], v[132:135]// 00000000B2DC: D3F30084 1E120170
	buffer_load_dwordx4 a[144:147], v72, s[84:87], 0 offen     // 00000000B2E4: E05C1000 80959048
	v_mfma_f32_16x16x32_fp8_fp8 v[132:135], a[114:115], a[2:3], v[132:135]// 00000000B2EC: D3F30084 1E120572
	v_mfma_f32_16x16x32_fp8_fp8 v[132:135], a[116:117], a[4:5], v[132:135]// 00000000B2F4: D3F30084 1E120974
	ds_read_b128 a[56:59], v2 offset:28928                     // 00000000B2FC: DBFE7100 38000002
	ds_read_b128 a[60:63], v2 offset:28992                     // 00000000B304: DBFE7140 3C000002
	v_mfma_f32_16x16x32_fp8_fp8 v[132:135], a[118:119], a[6:7], v[132:135]// 00000000B30C: D3F30084 1E120D76
	v_mfma_f32_16x16x32_fp8_fp8 v[160:163], a[120:121], a[0:1], v[160:163]// 00000000B314: D3F300A0 1E820178
	buffer_load_dwordx4 a[148:151], v72, s[84:87], 0 offen offset:1024// 00000000B31C: E05C1400 80959448
	v_mfma_f32_16x16x32_fp8_fp8 v[160:163], a[122:123], a[2:3], v[160:163]// 00000000B324: D3F300A0 1E82057A
	v_mfma_f32_16x16x32_fp8_fp8 v[160:163], a[124:125], a[4:5], v[160:163]// 00000000B32C: D3F300A0 1E82097C
	ds_read_b128 a[64:67], v2 offset:29440                     // 00000000B334: DBFE7300 40000002
	ds_read_b128 a[68:71], v2 offset:29504                     // 00000000B33C: DBFE7340 44000002
	v_mfma_f32_16x16x32_fp8_fp8 v[160:163], a[126:127], a[6:7], v[160:163]// 00000000B344: D3F300A0 1E820D7E
	v_mfma_f32_16x16x32_fp8_fp8 v[136:139], a[112:113], a[8:9], v[136:139]// 00000000B34C: D3F30088 1E221170
	buffer_load_dwordx4 a[152:155], v73, s[84:87], 0 offen     // 00000000B354: E05C1000 80959849
	v_mfma_f32_16x16x32_fp8_fp8 v[136:139], a[114:115], a[10:11], v[136:139]// 00000000B35C: D3F30088 1E221572
	v_mfma_f32_16x16x32_fp8_fp8 v[136:139], a[116:117], a[12:13], v[136:139]// 00000000B364: D3F30088 1E221974
	ds_read_b128 a[72:75], v2 offset:29952                     // 00000000B36C: DBFE7500 48000002
	ds_read_b128 a[76:79], v2 offset:30016                     // 00000000B374: DBFE7540 4C000002
	v_mfma_f32_16x16x32_fp8_fp8 v[136:139], a[118:119], a[14:15], v[136:139]// 00000000B37C: D3F30088 1E221D76
	v_mfma_f32_16x16x32_fp8_fp8 v[164:167], a[120:121], a[8:9], v[164:167]// 00000000B384: D3F300A4 1E921178
	buffer_load_dwordx4 a[156:159], v73, s[84:87], 0 offen offset:1024// 00000000B38C: E05C1400 80959C49
	v_mfma_f32_16x16x32_fp8_fp8 v[164:167], a[122:123], a[10:11], v[164:167]// 00000000B394: D3F300A4 1E92157A
	v_mfma_f32_16x16x32_fp8_fp8 v[164:167], a[124:125], a[12:13], v[164:167]// 00000000B39C: D3F300A4 1E92197C
	ds_read_b128 a[80:83], v2 offset:30464                     // 00000000B3A4: DBFE7700 50000002
	ds_read_b128 a[84:87], v2 offset:30528                     // 00000000B3AC: DBFE7740 54000002
	v_mfma_f32_16x16x32_fp8_fp8 v[164:167], a[126:127], a[14:15], v[164:167]// 00000000B3B4: D3F300A4 1E921D7E
	v_mfma_f32_16x16x32_fp8_fp8 v[140:143], a[112:113], a[16:17], v[140:143]// 00000000B3BC: D3F3008C 1E322170
	v_mfma_f32_16x16x32_fp8_fp8 v[140:143], a[114:115], a[18:19], v[140:143]// 00000000B3C4: D3F3008C 1E322572
	v_mfma_f32_16x16x32_fp8_fp8 v[140:143], a[116:117], a[20:21], v[140:143]// 00000000B3CC: D3F3008C 1E322974
	ds_read_b128 a[88:91], v2 offset:30976                     // 00000000B3D4: DBFE7900 58000002
	ds_read_b128 a[92:95], v2 offset:31040                     // 00000000B3DC: DBFE7940 5C000002
	v_mfma_f32_16x16x32_fp8_fp8 v[140:143], a[118:119], a[22:23], v[140:143]// 00000000B3E4: D3F3008C 1E322D76
	v_mfma_f32_16x16x32_fp8_fp8 v[168:171], a[120:121], a[16:17], v[168:171]// 00000000B3EC: D3F300A8 1EA22178
	v_mfma_f32_16x16x32_fp8_fp8 v[168:171], a[122:123], a[18:19], v[168:171]// 00000000B3F4: D3F300A8 1EA2257A
	v_mfma_f32_16x16x32_fp8_fp8 v[168:171], a[124:125], a[20:21], v[168:171]// 00000000B3FC: D3F300A8 1EA2297C
	ds_read_b128 a[96:99], v2 offset:31488                     // 00000000B404: DBFE7B00 60000002
	ds_read_b128 a[100:103], v2 offset:31552                   // 00000000B40C: DBFE7B40 64000002
	v_mfma_f32_16x16x32_fp8_fp8 v[168:171], a[126:127], a[22:23], v[168:171]// 00000000B414: D3F300A8 1EA22D7E
	v_mfma_f32_16x16x32_fp8_fp8 v[144:147], a[112:113], a[24:25], v[144:147]// 00000000B41C: D3F30090 1E423170
	v_mfma_f32_16x16x32_fp8_fp8 v[144:147], a[114:115], a[26:27], v[144:147]// 00000000B424: D3F30090 1E423572
	v_mfma_f32_16x16x32_fp8_fp8 v[144:147], a[116:117], a[28:29], v[144:147]// 00000000B42C: D3F30090 1E423974
	ds_read_b128 a[104:107], v2 offset:32000                   // 00000000B434: DBFE7D00 68000002
	ds_read_b128 a[108:111], v2 offset:32064                   // 00000000B43C: DBFE7D40 6C000002
	v_mfma_f32_16x16x32_fp8_fp8 v[144:147], a[118:119], a[30:31], v[144:147]// 00000000B444: D3F30090 1E423D76
	v_mfma_f32_16x16x32_fp8_fp8 v[172:175], a[120:121], a[24:25], v[172:175]// 00000000B44C: D3F300AC 1EB23178
	v_mfma_f32_16x16x32_fp8_fp8 v[172:175], a[122:123], a[26:27], v[172:175]// 00000000B454: D3F300AC 1EB2357A
	v_mfma_f32_16x16x32_fp8_fp8 v[172:175], a[124:125], a[28:29], v[172:175]// 00000000B45C: D3F300AC 1EB2397C
	v_mfma_f32_16x16x32_fp8_fp8 v[172:175], a[126:127], a[30:31], v[172:175]// 00000000B464: D3F300AC 1EB23D7E
	v_mfma_f32_16x16x32_fp8_fp8 v[148:151], a[112:113], a[32:33], v[148:151]// 00000000B46C: D3F30094 1E524170
	v_mfma_f32_16x16x32_fp8_fp8 v[148:151], a[114:115], a[34:35], v[148:151]// 00000000B474: D3F30094 1E524572
	v_mfma_f32_16x16x32_fp8_fp8 v[148:151], a[116:117], a[36:37], v[148:151]// 00000000B47C: D3F30094 1E524974
	v_mfma_f32_16x16x32_fp8_fp8 v[148:151], a[118:119], a[38:39], v[148:151]// 00000000B484: D3F30094 1E524D76
	v_mfma_f32_16x16x32_fp8_fp8 v[176:179], a[120:121], a[32:33], v[176:179]// 00000000B48C: D3F300B0 1EC24178
	v_mfma_f32_16x16x32_fp8_fp8 v[176:179], a[122:123], a[34:35], v[176:179]// 00000000B494: D3F300B0 1EC2457A
	v_mfma_f32_16x16x32_fp8_fp8 v[176:179], a[124:125], a[36:37], v[176:179]// 00000000B49C: D3F300B0 1EC2497C
	v_mfma_f32_16x16x32_fp8_fp8 v[176:179], a[126:127], a[38:39], v[176:179]// 00000000B4A4: D3F300B0 1EC24D7E
	v_mfma_f32_16x16x32_fp8_fp8 v[152:155], a[112:113], a[40:41], v[152:155]// 00000000B4AC: D3F30098 1E625170
	v_mfma_f32_16x16x32_fp8_fp8 v[152:155], a[114:115], a[42:43], v[152:155]// 00000000B4B4: D3F30098 1E625572
	v_mfma_f32_16x16x32_fp8_fp8 v[152:155], a[116:117], a[44:45], v[152:155]// 00000000B4BC: D3F30098 1E625974
	v_mfma_f32_16x16x32_fp8_fp8 v[152:155], a[118:119], a[46:47], v[152:155]// 00000000B4C4: D3F30098 1E625D76
	v_mfma_f32_16x16x32_fp8_fp8 v[180:183], a[120:121], a[40:41], v[180:183]// 00000000B4CC: D3F300B4 1ED25178
	v_mfma_f32_16x16x32_fp8_fp8 v[180:183], a[122:123], a[42:43], v[180:183]// 00000000B4D4: D3F300B4 1ED2557A
	v_mfma_f32_16x16x32_fp8_fp8 v[180:183], a[124:125], a[44:45], v[180:183]// 00000000B4DC: D3F300B4 1ED2597C
	v_mfma_f32_16x16x32_fp8_fp8 v[180:183], a[126:127], a[46:47], v[180:183]// 00000000B4E4: D3F300B4 1ED25D7E
	v_mfma_f32_16x16x32_fp8_fp8 v[156:159], a[112:113], a[48:49], v[156:159]// 00000000B4EC: D3F3009C 1E726170
	s_add_u32 s60, 0x180, s80                                  // 00000000B4F4: 803C50FF 00000180
	s_cmp_lt_u32 s60, s81                                      // 00000000B4FC: BF0A513C
	s_cselect_b32 s57, s57, 0                                  // 00000000B500: 85398039
	v_mfma_f32_16x16x32_fp8_fp8 v[156:159], a[114:115], a[50:51], v[156:159]// 00000000B504: D3F3009C 1E726572
	s_add_u32 s60, 0x100, s80                                  // 00000000B50C: 803C50FF 00000100
	s_cmp_lt_u32 s60, s81                                      // 00000000B514: BF0A513C
	s_cselect_b32 s58, s58, 0                                  // 00000000B518: 853A803A
	v_mfma_f32_16x16x32_fp8_fp8 v[156:159], a[116:117], a[52:53], v[156:159]// 00000000B51C: D3F3009C 1E726974
	s_add_u32 s60, 0x100, s80                                  // 00000000B524: 803C50FF 00000100
	s_cmp_lt_u32 s60, s81                                      // 00000000B52C: BF0A513C
	s_cselect_b32 s83, s83, 0                                  // 00000000B530: 85538053
	v_mfma_f32_16x16x32_fp8_fp8 v[156:159], a[118:119], a[54:55], v[156:159]// 00000000B534: D3F3009C 1E726D76
	s_add_u32 s24, s58, s24                                    // 00000000B53C: 8018183A
	s_addc_u32 s25, 0, s25                                     // 00000000B540: 82191980
	v_mfma_f32_16x16x32_fp8_fp8 v[184:187], a[120:121], a[48:49], v[184:187]// 00000000B544: D3F300B8 1EE26178
	s_add_u32 s20, s57, s20                                    // 00000000B54C: 80141439
	s_addc_u32 s21, 0, s21                                     // 00000000B550: 82151580
	v_mfma_f32_16x16x32_fp8_fp8 v[184:187], a[122:123], a[50:51], v[184:187]// 00000000B554: D3F300B8 1EE2657A
	s_add_u32 s84, s83, s84                                    // 00000000B55C: 80545453
	s_addc_u32 s85, 0, s85                                     // 00000000B560: 82555580
	v_mfma_f32_16x16x32_fp8_fp8 v[184:187], a[124:125], a[52:53], v[184:187]// 00000000B564: D3F300B8 1EE2697C
	v_mfma_f32_16x16x32_fp8_fp8 v[184:187], a[126:127], a[54:55], v[184:187]// 00000000B56C: D3F300B8 1EE26D7E
	s_addk_i32 s80, 0x80                                       // 00000000B574: B7500080
	s_cmp_lt_i32 s80, s81                                      // 00000000B578: BF045150
	s_cbranch_scc0 label_243F                                  // 00000000B57C: BF84015C
	s_waitcnt vmcnt(18) lgkmcnt(0)                             // 00000000B580: BF8C4072
	v_mfma_f32_16x16x32_fp8_fp8 v[76:79], a[128:129], a[56:57], v[76:79]// 00000000B584: D3F3004C 1D327180
	buffer_load_dwordx4 a[112:115], v72, s[24:27], 0 offen     // 00000000B58C: E05C1000 80867048
	v_mfma_f32_16x16x32_fp8_fp8 v[76:79], a[130:131], a[58:59], v[76:79]// 00000000B594: D3F3004C 1D327582
	v_mfma_f32_16x16x32_fp8_fp8 v[76:79], a[132:133], a[60:61], v[76:79]// 00000000B59C: D3F3004C 1D327984
	v_mfma_f32_16x16x32_fp8_fp8 v[76:79], a[134:135], a[62:63], v[76:79]// 00000000B5A4: D3F3004C 1D327D86
	v_mfma_f32_16x16x32_fp8_fp8 v[104:107], a[136:137], a[56:57], v[104:107]// 00000000B5AC: D3F30068 1DA27188
	buffer_load_dwordx4 a[116:119], v72, s[24:27], 0 offen offset:1024// 00000000B5B4: E05C1400 80867448
	v_mfma_f32_16x16x32_fp8_fp8 v[104:107], a[138:139], a[58:59], v[104:107]// 00000000B5BC: D3F30068 1DA2758A
	v_mfma_f32_16x16x32_fp8_fp8 v[104:107], a[140:141], a[60:61], v[104:107]// 00000000B5C4: D3F30068 1DA2798C
	v_mfma_f32_16x16x32_fp8_fp8 v[104:107], a[142:143], a[62:63], v[104:107]// 00000000B5CC: D3F30068 1DA27D8E
	v_mfma_f32_16x16x32_fp8_fp8 v[80:83], a[128:129], a[64:65], v[80:83]// 00000000B5D4: D3F30050 1D428180
	buffer_load_dwordx4 a[120:123], v73, s[24:27], 0 offen     // 00000000B5DC: E05C1000 80867849
	v_mfma_f32_16x16x32_fp8_fp8 v[80:83], a[130:131], a[66:67], v[80:83]// 00000000B5E4: D3F30050 1D428582
	v_mfma_f32_16x16x32_fp8_fp8 v[80:83], a[132:133], a[68:69], v[80:83]// 00000000B5EC: D3F30050 1D428984
	v_mfma_f32_16x16x32_fp8_fp8 v[80:83], a[134:135], a[70:71], v[80:83]// 00000000B5F4: D3F30050 1D428D86
	v_mfma_f32_16x16x32_fp8_fp8 v[108:111], a[136:137], a[64:65], v[108:111]// 00000000B5FC: D3F3006C 1DB28188
	buffer_load_dwordx4 a[124:127], v73, s[24:27], 0 offen offset:1024// 00000000B604: E05C1400 80867C49
	buffer_load_dword v58, s[20:23], 0 offen lds               // 00000000B60C: E0511000 8005003A
	s_add_u32 m0, 0x100, s49                                   // 00000000B614: 807C31FF 00000100
	v_mfma_f32_16x16x32_fp8_fp8 v[108:111], a[138:139], a[66:67], v[108:111]// 00000000B61C: D3F3006C 1DB2858A
	v_mfma_f32_16x16x32_fp8_fp8 v[108:111], a[140:141], a[68:69], v[108:111]// 00000000B624: D3F3006C 1DB2898C
	buffer_load_dword v59, s[20:23], 0 offen lds               // 00000000B62C: E0511000 8005003B
	s_add_u32 m0, 0x200, s49                                   // 00000000B634: 807C31FF 00000200
	v_mfma_f32_16x16x32_fp8_fp8 v[108:111], a[142:143], a[70:71], v[108:111]// 00000000B63C: D3F3006C 1DB28D8E
	v_mfma_f32_16x16x32_fp8_fp8 v[84:87], a[128:129], a[72:73], v[84:87]// 00000000B644: D3F30054 1D529180
	buffer_load_dword v60, s[20:23], 0 offen lds               // 00000000B64C: E0511000 8005003C
	s_add_u32 m0, 0x300, s49                                   // 00000000B654: 807C31FF 00000300
	v_mfma_f32_16x16x32_fp8_fp8 v[84:87], a[130:131], a[74:75], v[84:87]// 00000000B65C: D3F30054 1D529582
	v_mfma_f32_16x16x32_fp8_fp8 v[84:87], a[132:133], a[76:77], v[84:87]// 00000000B664: D3F30054 1D529984
	buffer_load_dword v61, s[20:23], 0 offen lds               // 00000000B66C: E0511000 8005003D
	s_add_u32 m0, 0x400, s49                                   // 00000000B674: 807C31FF 00000400
	v_mfma_f32_16x16x32_fp8_fp8 v[84:87], a[134:135], a[78:79], v[84:87]// 00000000B67C: D3F30054 1D529D86
	v_mfma_f32_16x16x32_fp8_fp8 v[112:115], a[136:137], a[72:73], v[112:115]// 00000000B684: D3F30070 1DC29188
	buffer_load_dword v62, s[20:23], 0 offen lds               // 00000000B68C: E0511000 8005003E
	s_add_u32 m0, 0x500, s49                                   // 00000000B694: 807C31FF 00000500
	v_mfma_f32_16x16x32_fp8_fp8 v[112:115], a[138:139], a[74:75], v[112:115]// 00000000B69C: D3F30070 1DC2958A
	v_mfma_f32_16x16x32_fp8_fp8 v[112:115], a[140:141], a[76:77], v[112:115]// 00000000B6A4: D3F30070 1DC2998C
	buffer_load_dword v63, s[20:23], 0 offen lds               // 00000000B6AC: E0511000 8005003F
	s_add_u32 m0, 0x600, s49                                   // 00000000B6B4: 807C31FF 00000600
	v_mfma_f32_16x16x32_fp8_fp8 v[112:115], a[142:143], a[78:79], v[112:115]// 00000000B6BC: D3F30070 1DC29D8E
	v_mfma_f32_16x16x32_fp8_fp8 v[88:91], a[128:129], a[80:81], v[88:91]// 00000000B6C4: D3F30058 1D62A180
	buffer_load_dword v64, s[20:23], 0 offen lds               // 00000000B6CC: E0511000 80050040
	s_add_u32 m0, 0x700, s49                                   // 00000000B6D4: 807C31FF 00000700
	v_mfma_f32_16x16x32_fp8_fp8 v[88:91], a[130:131], a[82:83], v[88:91]// 00000000B6DC: D3F30058 1D62A582
	v_mfma_f32_16x16x32_fp8_fp8 v[88:91], a[132:133], a[84:85], v[88:91]// 00000000B6E4: D3F30058 1D62A984
	buffer_load_dword v65, s[20:23], 0 offen lds               // 00000000B6EC: E0511000 80050041
	s_add_u32 m0, 0x800, s49                                   // 00000000B6F4: 807C31FF 00000800
	v_mfma_f32_16x16x32_fp8_fp8 v[88:91], a[134:135], a[86:87], v[88:91]// 00000000B6FC: D3F30058 1D62AD86
	v_mfma_f32_16x16x32_fp8_fp8 v[116:119], a[136:137], a[80:81], v[116:119]// 00000000B704: D3F30074 1DD2A188
	buffer_load_dword v66, s[20:23], 0 offen lds               // 00000000B70C: E0511000 80050042
	s_add_u32 m0, 0x900, s49                                   // 00000000B714: 807C31FF 00000900
	v_mfma_f32_16x16x32_fp8_fp8 v[116:119], a[138:139], a[82:83], v[116:119]// 00000000B71C: D3F30074 1DD2A58A
	v_mfma_f32_16x16x32_fp8_fp8 v[116:119], a[140:141], a[84:85], v[116:119]// 00000000B724: D3F30074 1DD2A98C
	buffer_load_dword v67, s[20:23], 0 offen lds               // 00000000B72C: E0511000 80050043
	s_add_u32 m0, 0xa00, s49                                   // 00000000B734: 807C31FF 00000A00
	v_mfma_f32_16x16x32_fp8_fp8 v[116:119], a[142:143], a[86:87], v[116:119]// 00000000B73C: D3F30074 1DD2AD8E
	v_mfma_f32_16x16x32_fp8_fp8 v[92:95], a[128:129], a[88:89], v[92:95]// 00000000B744: D3F3005C 1D72B180
	buffer_load_dword v68, s[20:23], 0 offen lds               // 00000000B74C: E0511000 80050044
	s_add_u32 m0, 0xb00, s49                                   // 00000000B754: 807C31FF 00000B00
	v_mfma_f32_16x16x32_fp8_fp8 v[92:95], a[130:131], a[90:91], v[92:95]// 00000000B75C: D3F3005C 1D72B582
	v_mfma_f32_16x16x32_fp8_fp8 v[92:95], a[132:133], a[92:93], v[92:95]// 00000000B764: D3F3005C 1D72B984
	buffer_load_dword v69, s[20:23], 0 offen lds               // 00000000B76C: E0511000 80050045
	s_add_u32 m0, 0xc00, s49                                   // 00000000B774: 807C31FF 00000C00
	v_mfma_f32_16x16x32_fp8_fp8 v[92:95], a[134:135], a[94:95], v[92:95]// 00000000B77C: D3F3005C 1D72BD86
	v_mfma_f32_16x16x32_fp8_fp8 v[120:123], a[136:137], a[88:89], v[120:123]// 00000000B784: D3F30078 1DE2B188
	buffer_load_dword v70, s[20:23], 0 offen lds               // 00000000B78C: E0511000 80050046
	s_add_u32 m0, 0xd00, s49                                   // 00000000B794: 807C31FF 00000D00
	v_mfma_f32_16x16x32_fp8_fp8 v[120:123], a[138:139], a[90:91], v[120:123]// 00000000B79C: D3F30078 1DE2B58A
	v_mfma_f32_16x16x32_fp8_fp8 v[120:123], a[140:141], a[92:93], v[120:123]// 00000000B7A4: D3F30078 1DE2B98C
	buffer_load_dword v71, s[20:23], 0 offen lds               // 00000000B7AC: E0511000 80050047
	s_add_u32 m0, 0, s50                                       // 00000000B7B4: 807C3280
	v_mfma_f32_16x16x32_fp8_fp8 v[120:123], a[142:143], a[94:95], v[120:123]// 00000000B7B8: D3F30078 1DE2BD8E
	v_mfma_f32_16x16x32_fp8_fp8 v[96:99], a[128:129], a[96:97], v[96:99]// 00000000B7C0: D3F30060 1D82C180
	v_mfma_f32_16x16x32_fp8_fp8 v[96:99], a[130:131], a[98:99], v[96:99]// 00000000B7C8: D3F30060 1D82C582
	v_mfma_f32_16x16x32_fp8_fp8 v[96:99], a[132:133], a[100:101], v[96:99]// 00000000B7D0: D3F30060 1D82C984
	v_mfma_f32_16x16x32_fp8_fp8 v[96:99], a[134:135], a[102:103], v[96:99]// 00000000B7D8: D3F30060 1D82CD86
	v_mfma_f32_16x16x32_fp8_fp8 v[124:127], a[136:137], a[96:97], v[124:127]// 00000000B7E0: D3F3007C 1DF2C188
	v_mfma_f32_16x16x32_fp8_fp8 v[124:127], a[138:139], a[98:99], v[124:127]// 00000000B7E8: D3F3007C 1DF2C58A
	v_mfma_f32_16x16x32_fp8_fp8 v[124:127], a[140:141], a[100:101], v[124:127]// 00000000B7F0: D3F3007C 1DF2C98C
	v_mfma_f32_16x16x32_fp8_fp8 v[124:127], a[142:143], a[102:103], v[124:127]// 00000000B7F8: D3F3007C 1DF2CD8E
	v_mfma_f32_16x16x32_fp8_fp8 v[100:103], a[128:129], a[104:105], v[100:103]// 00000000B800: D3F30064 1D92D180
	v_mfma_f32_16x16x32_fp8_fp8 v[100:103], a[130:131], a[106:107], v[100:103]// 00000000B808: D3F30064 1D92D582
	v_mfma_f32_16x16x32_fp8_fp8 v[100:103], a[132:133], a[108:109], v[100:103]// 00000000B810: D3F30064 1D92D984
	v_mfma_f32_16x16x32_fp8_fp8 v[100:103], a[134:135], a[110:111], v[100:103]// 00000000B818: D3F30064 1D92DD86
	v_mfma_f32_16x16x32_fp8_fp8 v[128:131], a[136:137], a[104:105], v[128:131]// 00000000B820: D3F30080 1E02D188
	v_mfma_f32_16x16x32_fp8_fp8 v[128:131], a[138:139], a[106:107], v[128:131]// 00000000B828: D3F30080 1E02D58A
	v_mfma_f32_16x16x32_fp8_fp8 v[128:131], a[140:141], a[108:109], v[128:131]// 00000000B830: D3F30080 1E02D98C
	v_mfma_f32_16x16x32_fp8_fp8 v[128:131], a[142:143], a[110:111], v[128:131]// 00000000B838: D3F30080 1E02DD8E
	s_waitcnt vmcnt(18)                                        // 00000000B840: BF8C4F72
	s_barrier                                                  // 00000000B844: BF8A0000
	v_mfma_f32_16x16x32_fp8_fp8 v[132:135], a[144:145], a[56:57], v[132:135]// 00000000B848: D3F30084 1E127190
	buffer_load_dwordx4 a[128:131], v72, s[84:87], 0 offen     // 00000000B850: E05C1000 80958048
	v_mfma_f32_16x16x32_fp8_fp8 v[132:135], a[146:147], a[58:59], v[132:135]// 00000000B858: D3F30084 1E127592
	v_mfma_f32_16x16x32_fp8_fp8 v[132:135], a[148:149], a[60:61], v[132:135]// 00000000B860: D3F30084 1E127994
	ds_read_b128 a[0:3], v2                                    // 00000000B868: DBFE0000 00000002
	ds_read_b128 a[4:7], v2 offset:64                          // 00000000B870: DBFE0040 04000002
	v_mfma_f32_16x16x32_fp8_fp8 v[132:135], a[150:151], a[62:63], v[132:135]// 00000000B878: D3F30084 1E127D96
	v_mfma_f32_16x16x32_fp8_fp8 v[160:163], a[152:153], a[56:57], v[160:163]// 00000000B880: D3F300A0 1E827198
	buffer_load_dwordx4 a[132:135], v72, s[84:87], 0 offen offset:1024// 00000000B888: E05C1400 80958448
	v_mfma_f32_16x16x32_fp8_fp8 v[160:163], a[154:155], a[58:59], v[160:163]// 00000000B890: D3F300A0 1E82759A
	v_mfma_f32_16x16x32_fp8_fp8 v[160:163], a[156:157], a[60:61], v[160:163]// 00000000B898: D3F300A0 1E82799C
	ds_read_b128 a[8:11], v2 offset:512                        // 00000000B8A0: DBFE0200 08000002
	ds_read_b128 a[12:15], v2 offset:576                       // 00000000B8A8: DBFE0240 0C000002
	v_mfma_f32_16x16x32_fp8_fp8 v[160:163], a[158:159], a[62:63], v[160:163]// 00000000B8B0: D3F300A0 1E827D9E
	v_mfma_f32_16x16x32_fp8_fp8 v[136:139], a[144:145], a[64:65], v[136:139]// 00000000B8B8: D3F30088 1E228190
	buffer_load_dwordx4 a[136:139], v73, s[84:87], 0 offen     // 00000000B8C0: E05C1000 80958849
	v_mfma_f32_16x16x32_fp8_fp8 v[136:139], a[146:147], a[66:67], v[136:139]// 00000000B8C8: D3F30088 1E228592
	v_mfma_f32_16x16x32_fp8_fp8 v[136:139], a[148:149], a[68:69], v[136:139]// 00000000B8D0: D3F30088 1E228994
	ds_read_b128 a[16:19], v2 offset:1024                      // 00000000B8D8: DBFE0400 10000002
	ds_read_b128 a[20:23], v2 offset:1088                      // 00000000B8E0: DBFE0440 14000002
	v_mfma_f32_16x16x32_fp8_fp8 v[136:139], a[150:151], a[70:71], v[136:139]// 00000000B8E8: D3F30088 1E228D96
	v_mfma_f32_16x16x32_fp8_fp8 v[164:167], a[152:153], a[64:65], v[164:167]// 00000000B8F0: D3F300A4 1E928198
	buffer_load_dwordx4 a[140:143], v73, s[84:87], 0 offen offset:1024// 00000000B8F8: E05C1400 80958C49
	v_mfma_f32_16x16x32_fp8_fp8 v[164:167], a[154:155], a[66:67], v[164:167]// 00000000B900: D3F300A4 1E92859A
	v_mfma_f32_16x16x32_fp8_fp8 v[164:167], a[156:157], a[68:69], v[164:167]// 00000000B908: D3F300A4 1E92899C
	ds_read_b128 a[24:27], v2 offset:1536                      // 00000000B910: DBFE0600 18000002
	ds_read_b128 a[28:31], v2 offset:1600                      // 00000000B918: DBFE0640 1C000002
	v_mfma_f32_16x16x32_fp8_fp8 v[164:167], a[158:159], a[70:71], v[164:167]// 00000000B920: D3F300A4 1E928D9E
	v_mfma_f32_16x16x32_fp8_fp8 v[140:143], a[144:145], a[72:73], v[140:143]// 00000000B928: D3F3008C 1E329190
	v_mfma_f32_16x16x32_fp8_fp8 v[140:143], a[146:147], a[74:75], v[140:143]// 00000000B930: D3F3008C 1E329592
	v_mfma_f32_16x16x32_fp8_fp8 v[140:143], a[148:149], a[76:77], v[140:143]// 00000000B938: D3F3008C 1E329994
	ds_read_b128 a[32:35], v2 offset:2048                      // 00000000B940: DBFE0800 20000002
	ds_read_b128 a[36:39], v2 offset:2112                      // 00000000B948: DBFE0840 24000002
	v_mfma_f32_16x16x32_fp8_fp8 v[140:143], a[150:151], a[78:79], v[140:143]// 00000000B950: D3F3008C 1E329D96
	v_mfma_f32_16x16x32_fp8_fp8 v[168:171], a[152:153], a[72:73], v[168:171]// 00000000B958: D3F300A8 1EA29198
	v_mfma_f32_16x16x32_fp8_fp8 v[168:171], a[154:155], a[74:75], v[168:171]// 00000000B960: D3F300A8 1EA2959A
	v_mfma_f32_16x16x32_fp8_fp8 v[168:171], a[156:157], a[76:77], v[168:171]// 00000000B968: D3F300A8 1EA2999C
	ds_read_b128 a[40:43], v2 offset:2560                      // 00000000B970: DBFE0A00 28000002
	ds_read_b128 a[44:47], v2 offset:2624                      // 00000000B978: DBFE0A40 2C000002
	v_mfma_f32_16x16x32_fp8_fp8 v[168:171], a[158:159], a[78:79], v[168:171]// 00000000B980: D3F300A8 1EA29D9E
	v_mfma_f32_16x16x32_fp8_fp8 v[144:147], a[144:145], a[80:81], v[144:147]// 00000000B988: D3F30090 1E42A190
	v_mfma_f32_16x16x32_fp8_fp8 v[144:147], a[146:147], a[82:83], v[144:147]// 00000000B990: D3F30090 1E42A592
	v_mfma_f32_16x16x32_fp8_fp8 v[144:147], a[148:149], a[84:85], v[144:147]// 00000000B998: D3F30090 1E42A994
	ds_read_b128 a[48:51], v2 offset:3072                      // 00000000B9A0: DBFE0C00 30000002
	ds_read_b128 a[52:55], v2 offset:3136                      // 00000000B9A8: DBFE0C40 34000002
	v_mfma_f32_16x16x32_fp8_fp8 v[144:147], a[150:151], a[86:87], v[144:147]// 00000000B9B0: D3F30090 1E42AD96
	v_mfma_f32_16x16x32_fp8_fp8 v[172:175], a[152:153], a[80:81], v[172:175]// 00000000B9B8: D3F300AC 1EB2A198
	v_mfma_f32_16x16x32_fp8_fp8 v[172:175], a[154:155], a[82:83], v[172:175]// 00000000B9C0: D3F300AC 1EB2A59A
	v_mfma_f32_16x16x32_fp8_fp8 v[172:175], a[156:157], a[84:85], v[172:175]// 00000000B9C8: D3F300AC 1EB2A99C
	v_mfma_f32_16x16x32_fp8_fp8 v[172:175], a[158:159], a[86:87], v[172:175]// 00000000B9D0: D3F300AC 1EB2AD9E
	v_mfma_f32_16x16x32_fp8_fp8 v[148:151], a[144:145], a[88:89], v[148:151]// 00000000B9D8: D3F30094 1E52B190
	v_mfma_f32_16x16x32_fp8_fp8 v[148:151], a[146:147], a[90:91], v[148:151]// 00000000B9E0: D3F30094 1E52B592
	v_mfma_f32_16x16x32_fp8_fp8 v[148:151], a[148:149], a[92:93], v[148:151]// 00000000B9E8: D3F30094 1E52B994
	v_mfma_f32_16x16x32_fp8_fp8 v[148:151], a[150:151], a[94:95], v[148:151]// 00000000B9F0: D3F30094 1E52BD96
	v_mfma_f32_16x16x32_fp8_fp8 v[176:179], a[152:153], a[88:89], v[176:179]// 00000000B9F8: D3F300B0 1EC2B198
	v_mfma_f32_16x16x32_fp8_fp8 v[176:179], a[154:155], a[90:91], v[176:179]// 00000000BA00: D3F300B0 1EC2B59A
	v_mfma_f32_16x16x32_fp8_fp8 v[176:179], a[156:157], a[92:93], v[176:179]// 00000000BA08: D3F300B0 1EC2B99C
	v_mfma_f32_16x16x32_fp8_fp8 v[176:179], a[158:159], a[94:95], v[176:179]// 00000000BA10: D3F300B0 1EC2BD9E
	v_mfma_f32_16x16x32_fp8_fp8 v[152:155], a[144:145], a[96:97], v[152:155]// 00000000BA18: D3F30098 1E62C190
	v_mfma_f32_16x16x32_fp8_fp8 v[152:155], a[146:147], a[98:99], v[152:155]// 00000000BA20: D3F30098 1E62C592
	v_mfma_f32_16x16x32_fp8_fp8 v[152:155], a[148:149], a[100:101], v[152:155]// 00000000BA28: D3F30098 1E62C994
	v_mfma_f32_16x16x32_fp8_fp8 v[152:155], a[150:151], a[102:103], v[152:155]// 00000000BA30: D3F30098 1E62CD96
	v_mfma_f32_16x16x32_fp8_fp8 v[180:183], a[152:153], a[96:97], v[180:183]// 00000000BA38: D3F300B4 1ED2C198
	v_mfma_f32_16x16x32_fp8_fp8 v[180:183], a[154:155], a[98:99], v[180:183]// 00000000BA40: D3F300B4 1ED2C59A
	v_mfma_f32_16x16x32_fp8_fp8 v[180:183], a[156:157], a[100:101], v[180:183]// 00000000BA48: D3F300B4 1ED2C99C
	v_mfma_f32_16x16x32_fp8_fp8 v[180:183], a[158:159], a[102:103], v[180:183]// 00000000BA50: D3F300B4 1ED2CD9E
	v_mfma_f32_16x16x32_fp8_fp8 v[156:159], a[144:145], a[104:105], v[156:159]// 00000000BA58: D3F3009C 1E72D190
	s_add_u32 s60, 0x180, s80                                  // 00000000BA60: 803C50FF 00000180
	s_cmp_lt_u32 s60, s81                                      // 00000000BA68: BF0A513C
	s_cselect_b32 s57, s57, 0                                  // 00000000BA6C: 85398039
	v_mfma_f32_16x16x32_fp8_fp8 v[156:159], a[146:147], a[106:107], v[156:159]// 00000000BA70: D3F3009C 1E72D592
	s_add_u32 s60, 0x100, s80                                  // 00000000BA78: 803C50FF 00000100
	s_cmp_lt_u32 s60, s81                                      // 00000000BA80: BF0A513C
	s_cselect_b32 s58, s58, 0                                  // 00000000BA84: 853A803A
	v_mfma_f32_16x16x32_fp8_fp8 v[156:159], a[148:149], a[108:109], v[156:159]// 00000000BA88: D3F3009C 1E72D994
	s_add_u32 s60, 0x100, s80                                  // 00000000BA90: 803C50FF 00000100
	s_cmp_lt_u32 s60, s81                                      // 00000000BA98: BF0A513C
	s_cselect_b32 s83, s83, 0                                  // 00000000BA9C: 85538053
	v_mfma_f32_16x16x32_fp8_fp8 v[156:159], a[150:151], a[110:111], v[156:159]// 00000000BAA0: D3F3009C 1E72DD96
	s_add_u32 s24, s58, s24                                    // 00000000BAA8: 8018183A
	s_addc_u32 s25, 0, s25                                     // 00000000BAAC: 82191980
	v_mfma_f32_16x16x32_fp8_fp8 v[184:187], a[152:153], a[104:105], v[184:187]// 00000000BAB0: D3F300B8 1EE2D198
	s_add_u32 s20, s57, s20                                    // 00000000BAB8: 80141439
	s_addc_u32 s21, 0, s21                                     // 00000000BABC: 82151580
	v_mfma_f32_16x16x32_fp8_fp8 v[184:187], a[154:155], a[106:107], v[184:187]// 00000000BAC0: D3F300B8 1EE2D59A
	s_add_u32 s84, s83, s84                                    // 00000000BAC8: 80545453
	s_addc_u32 s85, 0, s85                                     // 00000000BACC: 82555580
	v_mfma_f32_16x16x32_fp8_fp8 v[184:187], a[156:157], a[108:109], v[184:187]// 00000000BAD0: D3F300B8 1EE2D99C
	v_mfma_f32_16x16x32_fp8_fp8 v[184:187], a[158:159], a[110:111], v[184:187]// 00000000BAD8: D3F300B8 1EE2DD9E
	s_addk_i32 s80, 0x80                                       // 00000000BAE0: B7500080
	s_cmp_lt_i32 s80, s81                                      // 00000000BAE4: BF045150
	s_cbranch_scc0 label_243F                                  // 00000000BAE8: BF840001
	s_branch label_1C1C                                        // 00000000BAEC: BF82F7DD

000000000000baf0 <label_243F>:
	v_mul_f32_dpp v76, v24, v76 row_newbcast:0 row_mask:0xf bank_mask:0xf// 00000000BAF0: 0A9898FA FF015018
	v_mul_f32_dpp v77, v24, v77 row_newbcast:1 row_mask:0xf bank_mask:0xf// 00000000BAF8: 0A9A9AFA FF015118
	v_mul_f32_dpp v78, v24, v78 row_newbcast:2 row_mask:0xf bank_mask:0xf// 00000000BB00: 0A9C9CFA FF015218
	v_mul_f32_dpp v79, v24, v79 row_newbcast:3 row_mask:0xf bank_mask:0xf// 00000000BB08: 0A9E9EFA FF015318
	v_mul_f32_dpp v80, v24, v80 row_newbcast:0 row_mask:0xf bank_mask:0xf// 00000000BB10: 0AA0A0FA FF015018
	v_mul_f32_dpp v81, v24, v81 row_newbcast:1 row_mask:0xf bank_mask:0xf// 00000000BB18: 0AA2A2FA FF015118
	v_mul_f32_dpp v82, v24, v82 row_newbcast:2 row_mask:0xf bank_mask:0xf// 00000000BB20: 0AA4A4FA FF015218
	v_mul_f32_dpp v83, v24, v83 row_newbcast:3 row_mask:0xf bank_mask:0xf// 00000000BB28: 0AA6A6FA FF015318
	v_mul_f32_dpp v84, v24, v84 row_newbcast:0 row_mask:0xf bank_mask:0xf// 00000000BB30: 0AA8A8FA FF015018
	v_mul_f32_dpp v85, v24, v85 row_newbcast:1 row_mask:0xf bank_mask:0xf// 00000000BB38: 0AAAAAFA FF015118
	v_mul_f32_dpp v86, v24, v86 row_newbcast:2 row_mask:0xf bank_mask:0xf// 00000000BB40: 0AACACFA FF015218
	v_mul_f32_dpp v87, v24, v87 row_newbcast:3 row_mask:0xf bank_mask:0xf// 00000000BB48: 0AAEAEFA FF015318
	v_mul_f32_dpp v88, v24, v88 row_newbcast:0 row_mask:0xf bank_mask:0xf// 00000000BB50: 0AB0B0FA FF015018
	v_mul_f32_dpp v89, v24, v89 row_newbcast:1 row_mask:0xf bank_mask:0xf// 00000000BB58: 0AB2B2FA FF015118
	v_mul_f32_dpp v90, v24, v90 row_newbcast:2 row_mask:0xf bank_mask:0xf// 00000000BB60: 0AB4B4FA FF015218
	v_mul_f32_dpp v91, v24, v91 row_newbcast:3 row_mask:0xf bank_mask:0xf// 00000000BB68: 0AB6B6FA FF015318
	v_mul_f32_dpp v92, v24, v92 row_newbcast:0 row_mask:0xf bank_mask:0xf// 00000000BB70: 0AB8B8FA FF015018
	v_mul_f32_dpp v93, v24, v93 row_newbcast:1 row_mask:0xf bank_mask:0xf// 00000000BB78: 0ABABAFA FF015118
	v_mul_f32_dpp v94, v24, v94 row_newbcast:2 row_mask:0xf bank_mask:0xf// 00000000BB80: 0ABCBCFA FF015218
	v_mul_f32_dpp v95, v24, v95 row_newbcast:3 row_mask:0xf bank_mask:0xf// 00000000BB88: 0ABEBEFA FF015318
	v_mul_f32_dpp v96, v24, v96 row_newbcast:0 row_mask:0xf bank_mask:0xf// 00000000BB90: 0AC0C0FA FF015018
	v_mul_f32_dpp v97, v24, v97 row_newbcast:1 row_mask:0xf bank_mask:0xf// 00000000BB98: 0AC2C2FA FF015118
	v_mul_f32_dpp v98, v24, v98 row_newbcast:2 row_mask:0xf bank_mask:0xf// 00000000BBA0: 0AC4C4FA FF015218
	v_mul_f32_dpp v99, v24, v99 row_newbcast:3 row_mask:0xf bank_mask:0xf// 00000000BBA8: 0AC6C6FA FF015318
	v_mul_f32_dpp v100, v24, v100 row_newbcast:0 row_mask:0xf bank_mask:0xf// 00000000BBB0: 0AC8C8FA FF015018
	v_mul_f32_dpp v101, v24, v101 row_newbcast:1 row_mask:0xf bank_mask:0xf// 00000000BBB8: 0ACACAFA FF015118
	v_mul_f32_dpp v102, v24, v102 row_newbcast:2 row_mask:0xf bank_mask:0xf// 00000000BBC0: 0ACCCCFA FF015218
	v_mul_f32_dpp v103, v24, v103 row_newbcast:3 row_mask:0xf bank_mask:0xf// 00000000BBC8: 0ACECEFA FF015318
	v_mul_f32_dpp v104, v24, v104 row_newbcast:4 row_mask:0xf bank_mask:0xf// 00000000BBD0: 0AD0D0FA FF015418
	v_mul_f32_dpp v105, v24, v105 row_newbcast:5 row_mask:0xf bank_mask:0xf// 00000000BBD8: 0AD2D2FA FF015518
	v_mul_f32_dpp v106, v24, v106 row_newbcast:6 row_mask:0xf bank_mask:0xf// 00000000BBE0: 0AD4D4FA FF015618
	v_mul_f32_dpp v107, v24, v107 row_newbcast:7 row_mask:0xf bank_mask:0xf// 00000000BBE8: 0AD6D6FA FF015718
	v_mul_f32_dpp v108, v24, v108 row_newbcast:4 row_mask:0xf bank_mask:0xf// 00000000BBF0: 0AD8D8FA FF015418
	v_mul_f32_dpp v109, v24, v109 row_newbcast:5 row_mask:0xf bank_mask:0xf// 00000000BBF8: 0ADADAFA FF015518
	v_mul_f32_dpp v110, v24, v110 row_newbcast:6 row_mask:0xf bank_mask:0xf// 00000000BC00: 0ADCDCFA FF015618
	v_mul_f32_dpp v111, v24, v111 row_newbcast:7 row_mask:0xf bank_mask:0xf// 00000000BC08: 0ADEDEFA FF015718
	v_mul_f32_dpp v112, v24, v112 row_newbcast:4 row_mask:0xf bank_mask:0xf// 00000000BC10: 0AE0E0FA FF015418
	v_mul_f32_dpp v113, v24, v113 row_newbcast:5 row_mask:0xf bank_mask:0xf// 00000000BC18: 0AE2E2FA FF015518
	v_mul_f32_dpp v114, v24, v114 row_newbcast:6 row_mask:0xf bank_mask:0xf// 00000000BC20: 0AE4E4FA FF015618
	v_mul_f32_dpp v115, v24, v115 row_newbcast:7 row_mask:0xf bank_mask:0xf// 00000000BC28: 0AE6E6FA FF015718
	v_mul_f32_dpp v116, v24, v116 row_newbcast:4 row_mask:0xf bank_mask:0xf// 00000000BC30: 0AE8E8FA FF015418
	v_mul_f32_dpp v117, v24, v117 row_newbcast:5 row_mask:0xf bank_mask:0xf// 00000000BC38: 0AEAEAFA FF015518
	v_mul_f32_dpp v118, v24, v118 row_newbcast:6 row_mask:0xf bank_mask:0xf// 00000000BC40: 0AECECFA FF015618
	v_mul_f32_dpp v119, v24, v119 row_newbcast:7 row_mask:0xf bank_mask:0xf// 00000000BC48: 0AEEEEFA FF015718
	v_mul_f32_dpp v120, v24, v120 row_newbcast:4 row_mask:0xf bank_mask:0xf// 00000000BC50: 0AF0F0FA FF015418
	v_mul_f32_dpp v121, v24, v121 row_newbcast:5 row_mask:0xf bank_mask:0xf// 00000000BC58: 0AF2F2FA FF015518
	v_mul_f32_dpp v122, v24, v122 row_newbcast:6 row_mask:0xf bank_mask:0xf// 00000000BC60: 0AF4F4FA FF015618
	v_mul_f32_dpp v123, v24, v123 row_newbcast:7 row_mask:0xf bank_mask:0xf// 00000000BC68: 0AF6F6FA FF015718
	v_mul_f32_dpp v124, v24, v124 row_newbcast:4 row_mask:0xf bank_mask:0xf// 00000000BC70: 0AF8F8FA FF015418
	v_mul_f32_dpp v125, v24, v125 row_newbcast:5 row_mask:0xf bank_mask:0xf// 00000000BC78: 0AFAFAFA FF015518
	v_mul_f32_dpp v126, v24, v126 row_newbcast:6 row_mask:0xf bank_mask:0xf// 00000000BC80: 0AFCFCFA FF015618
	v_mul_f32_dpp v127, v24, v127 row_newbcast:7 row_mask:0xf bank_mask:0xf// 00000000BC88: 0AFEFEFA FF015718
	v_mul_f32_dpp v128, v24, v128 row_newbcast:4 row_mask:0xf bank_mask:0xf// 00000000BC90: 0B0100FA FF015418
	v_mul_f32_dpp v129, v24, v129 row_newbcast:5 row_mask:0xf bank_mask:0xf// 00000000BC98: 0B0302FA FF015518
	v_mul_f32_dpp v130, v24, v130 row_newbcast:6 row_mask:0xf bank_mask:0xf// 00000000BCA0: 0B0504FA FF015618
	v_mul_f32_dpp v131, v24, v131 row_newbcast:7 row_mask:0xf bank_mask:0xf// 00000000BCA8: 0B0706FA FF015718
	v_mul_f32_dpp v132, v27, v132 row_newbcast:0 row_mask:0xf bank_mask:0xf// 00000000BCB0: 0B0908FA FF01501B
	v_mul_f32_dpp v133, v27, v133 row_newbcast:1 row_mask:0xf bank_mask:0xf// 00000000BCB8: 0B0B0AFA FF01511B
	v_mul_f32_dpp v134, v27, v134 row_newbcast:2 row_mask:0xf bank_mask:0xf// 00000000BCC0: 0B0D0CFA FF01521B
	v_mul_f32_dpp v135, v27, v135 row_newbcast:3 row_mask:0xf bank_mask:0xf// 00000000BCC8: 0B0F0EFA FF01531B
	v_mul_f32_dpp v136, v27, v136 row_newbcast:0 row_mask:0xf bank_mask:0xf// 00000000BCD0: 0B1110FA FF01501B
	v_mul_f32_dpp v137, v27, v137 row_newbcast:1 row_mask:0xf bank_mask:0xf// 00000000BCD8: 0B1312FA FF01511B
	v_mul_f32_dpp v138, v27, v138 row_newbcast:2 row_mask:0xf bank_mask:0xf// 00000000BCE0: 0B1514FA FF01521B
	v_mul_f32_dpp v139, v27, v139 row_newbcast:3 row_mask:0xf bank_mask:0xf// 00000000BCE8: 0B1716FA FF01531B
	v_mul_f32_dpp v140, v27, v140 row_newbcast:0 row_mask:0xf bank_mask:0xf// 00000000BCF0: 0B1918FA FF01501B
	v_mul_f32_dpp v141, v27, v141 row_newbcast:1 row_mask:0xf bank_mask:0xf// 00000000BCF8: 0B1B1AFA FF01511B
	v_mul_f32_dpp v142, v27, v142 row_newbcast:2 row_mask:0xf bank_mask:0xf// 00000000BD00: 0B1D1CFA FF01521B
	v_mul_f32_dpp v143, v27, v143 row_newbcast:3 row_mask:0xf bank_mask:0xf// 00000000BD08: 0B1F1EFA FF01531B
	v_mul_f32_dpp v144, v27, v144 row_newbcast:0 row_mask:0xf bank_mask:0xf// 00000000BD10: 0B2120FA FF01501B
	v_mul_f32_dpp v145, v27, v145 row_newbcast:1 row_mask:0xf bank_mask:0xf// 00000000BD18: 0B2322FA FF01511B
	v_mul_f32_dpp v146, v27, v146 row_newbcast:2 row_mask:0xf bank_mask:0xf// 00000000BD20: 0B2524FA FF01521B
	v_mul_f32_dpp v147, v27, v147 row_newbcast:3 row_mask:0xf bank_mask:0xf// 00000000BD28: 0B2726FA FF01531B
	v_mul_f32_dpp v148, v27, v148 row_newbcast:0 row_mask:0xf bank_mask:0xf// 00000000BD30: 0B2928FA FF01501B
	v_mul_f32_dpp v149, v27, v149 row_newbcast:1 row_mask:0xf bank_mask:0xf// 00000000BD38: 0B2B2AFA FF01511B
	v_mul_f32_dpp v150, v27, v150 row_newbcast:2 row_mask:0xf bank_mask:0xf// 00000000BD40: 0B2D2CFA FF01521B
	v_mul_f32_dpp v151, v27, v151 row_newbcast:3 row_mask:0xf bank_mask:0xf// 00000000BD48: 0B2F2EFA FF01531B
	v_mul_f32_dpp v152, v27, v152 row_newbcast:0 row_mask:0xf bank_mask:0xf// 00000000BD50: 0B3130FA FF01501B
	v_mul_f32_dpp v153, v27, v153 row_newbcast:1 row_mask:0xf bank_mask:0xf// 00000000BD58: 0B3332FA FF01511B
	v_mul_f32_dpp v154, v27, v154 row_newbcast:2 row_mask:0xf bank_mask:0xf// 00000000BD60: 0B3534FA FF01521B
	v_mul_f32_dpp v155, v27, v155 row_newbcast:3 row_mask:0xf bank_mask:0xf// 00000000BD68: 0B3736FA FF01531B
	v_mul_f32_dpp v156, v27, v156 row_newbcast:0 row_mask:0xf bank_mask:0xf// 00000000BD70: 0B3938FA FF01501B
	v_mul_f32_dpp v157, v27, v157 row_newbcast:1 row_mask:0xf bank_mask:0xf// 00000000BD78: 0B3B3AFA FF01511B
	v_mul_f32_dpp v158, v27, v158 row_newbcast:2 row_mask:0xf bank_mask:0xf// 00000000BD80: 0B3D3CFA FF01521B
	v_mul_f32_dpp v159, v27, v159 row_newbcast:3 row_mask:0xf bank_mask:0xf// 00000000BD88: 0B3F3EFA FF01531B
	v_mul_f32_dpp v160, v27, v160 row_newbcast:4 row_mask:0xf bank_mask:0xf// 00000000BD90: 0B4140FA FF01541B
	v_mul_f32_dpp v161, v27, v161 row_newbcast:5 row_mask:0xf bank_mask:0xf// 00000000BD98: 0B4342FA FF01551B
	v_mul_f32_dpp v162, v27, v162 row_newbcast:6 row_mask:0xf bank_mask:0xf// 00000000BDA0: 0B4544FA FF01561B
	v_mul_f32_dpp v163, v27, v163 row_newbcast:7 row_mask:0xf bank_mask:0xf// 00000000BDA8: 0B4746FA FF01571B
	v_mul_f32_dpp v164, v27, v164 row_newbcast:4 row_mask:0xf bank_mask:0xf// 00000000BDB0: 0B4948FA FF01541B
	v_mul_f32_dpp v165, v27, v165 row_newbcast:5 row_mask:0xf bank_mask:0xf// 00000000BDB8: 0B4B4AFA FF01551B
	v_mul_f32_dpp v166, v27, v166 row_newbcast:6 row_mask:0xf bank_mask:0xf// 00000000BDC0: 0B4D4CFA FF01561B
	v_mul_f32_dpp v167, v27, v167 row_newbcast:7 row_mask:0xf bank_mask:0xf// 00000000BDC8: 0B4F4EFA FF01571B
	v_mul_f32_dpp v168, v27, v168 row_newbcast:4 row_mask:0xf bank_mask:0xf// 00000000BDD0: 0B5150FA FF01541B
	v_mul_f32_dpp v169, v27, v169 row_newbcast:5 row_mask:0xf bank_mask:0xf// 00000000BDD8: 0B5352FA FF01551B
	v_mul_f32_dpp v170, v27, v170 row_newbcast:6 row_mask:0xf bank_mask:0xf// 00000000BDE0: 0B5554FA FF01561B
	v_mul_f32_dpp v171, v27, v171 row_newbcast:7 row_mask:0xf bank_mask:0xf// 00000000BDE8: 0B5756FA FF01571B
	v_mul_f32_dpp v172, v27, v172 row_newbcast:4 row_mask:0xf bank_mask:0xf// 00000000BDF0: 0B5958FA FF01541B
	v_mul_f32_dpp v173, v27, v173 row_newbcast:5 row_mask:0xf bank_mask:0xf// 00000000BDF8: 0B5B5AFA FF01551B
	v_mul_f32_dpp v174, v27, v174 row_newbcast:6 row_mask:0xf bank_mask:0xf// 00000000BE00: 0B5D5CFA FF01561B
	v_mul_f32_dpp v175, v27, v175 row_newbcast:7 row_mask:0xf bank_mask:0xf// 00000000BE08: 0B5F5EFA FF01571B
	v_mul_f32_dpp v176, v27, v176 row_newbcast:4 row_mask:0xf bank_mask:0xf// 00000000BE10: 0B6160FA FF01541B
	v_mul_f32_dpp v177, v27, v177 row_newbcast:5 row_mask:0xf bank_mask:0xf// 00000000BE18: 0B6362FA FF01551B
	v_mul_f32_dpp v178, v27, v178 row_newbcast:6 row_mask:0xf bank_mask:0xf// 00000000BE20: 0B6564FA FF01561B
	v_mul_f32_dpp v179, v27, v179 row_newbcast:7 row_mask:0xf bank_mask:0xf// 00000000BE28: 0B6766FA FF01571B
	v_mul_f32_dpp v180, v27, v180 row_newbcast:4 row_mask:0xf bank_mask:0xf// 00000000BE30: 0B6968FA FF01541B
	v_mul_f32_dpp v181, v27, v181 row_newbcast:5 row_mask:0xf bank_mask:0xf// 00000000BE38: 0B6B6AFA FF01551B
	v_mul_f32_dpp v182, v27, v182 row_newbcast:6 row_mask:0xf bank_mask:0xf// 00000000BE40: 0B6D6CFA FF01561B
	v_mul_f32_dpp v183, v27, v183 row_newbcast:7 row_mask:0xf bank_mask:0xf// 00000000BE48: 0B6F6EFA FF01571B
	v_mul_f32_dpp v184, v27, v184 row_newbcast:4 row_mask:0xf bank_mask:0xf// 00000000BE50: 0B7170FA FF01541B
	v_mul_f32_dpp v185, v27, v185 row_newbcast:5 row_mask:0xf bank_mask:0xf// 00000000BE58: 0B7372FA FF01551B
	v_mul_f32_dpp v186, v27, v186 row_newbcast:6 row_mask:0xf bank_mask:0xf// 00000000BE60: 0B7574FA FF01561B
	v_mul_f32_dpp v187, v27, v187 row_newbcast:7 row_mask:0xf bank_mask:0xf// 00000000BE68: 0B7776FA FF01571B
	v_mov_b32_e32 v4, v37                                      // 00000000BE70: 7E080325
	v_mov_b32_e32 v5, v4                                       // 00000000BE74: 7E0A0304
	v_pk_mul_f32 v[76:77], v[4:5], v[76:77]                    // 00000000BE78: D3B1404C 18029904
	v_pk_mul_f32 v[132:133], v[4:5], v[132:133]                // 00000000BE80: D3B14084 18030904
	v_pk_mul_f32 v[78:79], v[4:5], v[78:79]                    // 00000000BE88: D3B1404E 18029D04
	v_pk_mul_f32 v[134:135], v[4:5], v[134:135]                // 00000000BE90: D3B14086 18030D04
	v_pk_mul_f32 v[104:105], v[4:5], v[104:105]                // 00000000BE98: D3B14068 1802D104
	v_pk_mul_f32 v[160:161], v[4:5], v[160:161]                // 00000000BEA0: D3B140A0 18034104
	v_pk_mul_f32 v[106:107], v[4:5], v[106:107]                // 00000000BEA8: D3B1406A 1802D504
	v_pk_mul_f32 v[162:163], v[4:5], v[162:163]                // 00000000BEB0: D3B140A2 18034504
	v_mov_b32_e32 v4, v38                                      // 00000000BEB8: 7E080326
	v_mov_b32_e32 v5, v4                                       // 00000000BEBC: 7E0A0304
	v_pk_mul_f32 v[80:81], v[4:5], v[80:81]                    // 00000000BEC0: D3B14050 1802A104
	v_pk_mul_f32 v[136:137], v[4:5], v[136:137]                // 00000000BEC8: D3B14088 18031104
	v_pk_mul_f32 v[82:83], v[4:5], v[82:83]                    // 00000000BED0: D3B14052 1802A504
	v_pk_mul_f32 v[138:139], v[4:5], v[138:139]                // 00000000BED8: D3B1408A 18031504
	v_pk_mul_f32 v[108:109], v[4:5], v[108:109]                // 00000000BEE0: D3B1406C 1802D904
	v_pk_mul_f32 v[164:165], v[4:5], v[164:165]                // 00000000BEE8: D3B140A4 18034904
	v_pk_mul_f32 v[110:111], v[4:5], v[110:111]                // 00000000BEF0: D3B1406E 1802DD04
	v_pk_mul_f32 v[166:167], v[4:5], v[166:167]                // 00000000BEF8: D3B140A6 18034D04
	v_mov_b32_e32 v4, v39                                      // 00000000BF00: 7E080327
	v_mov_b32_e32 v5, v4                                       // 00000000BF04: 7E0A0304
	v_pk_mul_f32 v[84:85], v[4:5], v[84:85]                    // 00000000BF08: D3B14054 1802A904
	v_pk_mul_f32 v[140:141], v[4:5], v[140:141]                // 00000000BF10: D3B1408C 18031904
	v_pk_mul_f32 v[86:87], v[4:5], v[86:87]                    // 00000000BF18: D3B14056 1802AD04
	v_pk_mul_f32 v[142:143], v[4:5], v[142:143]                // 00000000BF20: D3B1408E 18031D04
	v_pk_mul_f32 v[112:113], v[4:5], v[112:113]                // 00000000BF28: D3B14070 1802E104
	v_pk_mul_f32 v[168:169], v[4:5], v[168:169]                // 00000000BF30: D3B140A8 18035104
	v_pk_mul_f32 v[114:115], v[4:5], v[114:115]                // 00000000BF38: D3B14072 1802E504
	v_pk_mul_f32 v[170:171], v[4:5], v[170:171]                // 00000000BF40: D3B140AA 18035504
	v_mov_b32_e32 v4, v40                                      // 00000000BF48: 7E080328
	v_mov_b32_e32 v5, v4                                       // 00000000BF4C: 7E0A0304
	v_pk_mul_f32 v[88:89], v[4:5], v[88:89]                    // 00000000BF50: D3B14058 1802B104
	v_pk_mul_f32 v[144:145], v[4:5], v[144:145]                // 00000000BF58: D3B14090 18032104
	v_pk_mul_f32 v[90:91], v[4:5], v[90:91]                    // 00000000BF60: D3B1405A 1802B504
	v_pk_mul_f32 v[146:147], v[4:5], v[146:147]                // 00000000BF68: D3B14092 18032504
	v_pk_mul_f32 v[116:117], v[4:5], v[116:117]                // 00000000BF70: D3B14074 1802E904
	v_pk_mul_f32 v[172:173], v[4:5], v[172:173]                // 00000000BF78: D3B140AC 18035904
	v_pk_mul_f32 v[118:119], v[4:5], v[118:119]                // 00000000BF80: D3B14076 1802ED04
	v_pk_mul_f32 v[174:175], v[4:5], v[174:175]                // 00000000BF88: D3B140AE 18035D04
	v_mov_b32_e32 v4, v41                                      // 00000000BF90: 7E080329
	v_mov_b32_e32 v5, v4                                       // 00000000BF94: 7E0A0304
	v_pk_mul_f32 v[92:93], v[4:5], v[92:93]                    // 00000000BF98: D3B1405C 1802B904
	v_pk_mul_f32 v[148:149], v[4:5], v[148:149]                // 00000000BFA0: D3B14094 18032904
	v_pk_mul_f32 v[94:95], v[4:5], v[94:95]                    // 00000000BFA8: D3B1405E 1802BD04
	v_pk_mul_f32 v[150:151], v[4:5], v[150:151]                // 00000000BFB0: D3B14096 18032D04
	v_pk_mul_f32 v[120:121], v[4:5], v[120:121]                // 00000000BFB8: D3B14078 1802F104
	v_pk_mul_f32 v[176:177], v[4:5], v[176:177]                // 00000000BFC0: D3B140B0 18036104
	v_pk_mul_f32 v[122:123], v[4:5], v[122:123]                // 00000000BFC8: D3B1407A 1802F504
	v_pk_mul_f32 v[178:179], v[4:5], v[178:179]                // 00000000BFD0: D3B140B2 18036504
	v_mov_b32_e32 v4, v42                                      // 00000000BFD8: 7E08032A
	v_mov_b32_e32 v5, v4                                       // 00000000BFDC: 7E0A0304
	v_pk_mul_f32 v[96:97], v[4:5], v[96:97]                    // 00000000BFE0: D3B14060 1802C104
	v_pk_mul_f32 v[152:153], v[4:5], v[152:153]                // 00000000BFE8: D3B14098 18033104
	v_pk_mul_f32 v[98:99], v[4:5], v[98:99]                    // 00000000BFF0: D3B14062 1802C504
	v_pk_mul_f32 v[154:155], v[4:5], v[154:155]                // 00000000BFF8: D3B1409A 18033504
	v_pk_mul_f32 v[124:125], v[4:5], v[124:125]                // 00000000C000: D3B1407C 1802F904
	v_pk_mul_f32 v[180:181], v[4:5], v[180:181]                // 00000000C008: D3B140B4 18036904
	v_pk_mul_f32 v[126:127], v[4:5], v[126:127]                // 00000000C010: D3B1407E 1802FD04
	v_pk_mul_f32 v[182:183], v[4:5], v[182:183]                // 00000000C018: D3B140B6 18036D04
	v_mov_b32_e32 v4, v43                                      // 00000000C020: 7E08032B
	v_mov_b32_e32 v5, v4                                       // 00000000C024: 7E0A0304
	v_pk_mul_f32 v[100:101], v[4:5], v[100:101]                // 00000000C028: D3B14064 1802C904
	v_pk_mul_f32 v[156:157], v[4:5], v[156:157]                // 00000000C030: D3B1409C 18033904
	v_pk_mul_f32 v[102:103], v[4:5], v[102:103]                // 00000000C038: D3B14066 1802CD04
	v_pk_mul_f32 v[158:159], v[4:5], v[158:159]                // 00000000C040: D3B1409E 18033D04
	v_pk_mul_f32 v[128:129], v[4:5], v[128:129]                // 00000000C048: D3B14080 18030104
	v_pk_mul_f32 v[184:185], v[4:5], v[184:185]                // 00000000C050: D3B140B8 18037104
	v_pk_mul_f32 v[130:131], v[4:5], v[130:131]                // 00000000C058: D3B14082 18030504
	v_pk_mul_f32 v[186:187], v[4:5], v[186:187]                // 00000000C060: D3B140BA 18037504
	s_cmp_eq_u32 s88, 0                                        // 00000000C068: BF068058
	s_cbranch_scc0 label_2DD8                                  // 00000000C06C: BF840839
	s_cmp_eq_u32 s89, 0                                        // 00000000C070: BF068059
	s_cbranch_scc1 label_27D6                                  // 00000000C074: BF850235
	v_mov_b32_e32 v8, v1                                       // 00000000C078: 7E100301
	v_mov_b32_e32 v9, v1                                       // 00000000C07C: 7E120301
	s_mov_b32 s60, s6                                          // 00000000C080: BEBC0006
	s_mov_b32 s61, s6                                          // 00000000C084: BEBD0006
	v_pk_mul_f32 v[4:5], v[76:77], v[76:77]                    // 00000000C088: D3B14004 1802994C
	v_pk_mul_f32 v[6:7], v[78:79], v[78:79]                    // 00000000C090: D3B14006 18029D4E
	v_pk_fma_f32 v[4:5], v[4:5], s[78:79], v[8:9]              // 00000000C098: D3B04004 1C209D04
	v_pk_fma_f32 v[6:7], v[6:7], s[78:79], v[8:9]              // 00000000C0A0: D3B04006 1C209D06
	v_pk_mul_f32 v[4:5], v[4:5], v[76:77]                      // 00000000C0A8: D3B14004 18029904
	v_pk_mul_f32 v[6:7], v[6:7], v[78:79]                      // 00000000C0B0: D3B14006 18029D06
	v_pk_mul_f32 v[4:5], v[4:5], s[60:61]                      // 00000000C0B8: D3B14004 18007904
	v_pk_mul_f32 v[6:7], v[6:7], s[60:61]                      // 00000000C0C0: D3B14006 18007906
	v_exp_f32_e32 v4, v4                                       // 00000000C0C8: 7E084104
	v_exp_f32_e32 v5, v5                                       // 00000000C0CC: 7E0A4105
	v_exp_f32_e32 v6, v6                                       // 00000000C0D0: 7E0C4106
	v_exp_f32_e32 v7, v7                                       // 00000000C0D4: 7E0E4107
	v_add_f32_e64 v4, v4, 1.0                                  // 00000000C0D8: D1010004 0001E504
	v_add_f32_e64 v5, v5, 1.0                                  // 00000000C0E0: D1010005 0001E505
	v_add_f32_e64 v6, v6, 1.0                                  // 00000000C0E8: D1010006 0001E506
	v_add_f32_e64 v7, v7, 1.0                                  // 00000000C0F0: D1010007 0001E507
	v_rcp_f32_e32 v4, v4                                       // 00000000C0F8: 7E084504
	v_rcp_f32_e32 v5, v5                                       // 00000000C0FC: 7E0A4505
	v_rcp_f32_e32 v6, v6                                       // 00000000C100: 7E0C4506
	v_rcp_f32_e32 v7, v7                                       // 00000000C104: 7E0E4507
	v_mul_f32_e32 v76, v76, v4                                 // 00000000C108: 0A98094C
	v_mul_f32_e32 v77, v77, v5                                 // 00000000C10C: 0A9A0B4D
	v_mul_f32_e32 v78, v78, v6                                 // 00000000C110: 0A9C0D4E
	v_mul_f32_e32 v79, v79, v7                                 // 00000000C114: 0A9E0F4F
	v_mul_f32_e32 v76, v76, v132                               // 00000000C118: 0A99094C
	v_mul_f32_e32 v77, v77, v133                               // 00000000C11C: 0A9B0B4D
	v_mul_f32_e32 v78, v78, v134                               // 00000000C120: 0A9D0D4E
	v_mul_f32_e32 v79, v79, v135                               // 00000000C124: 0A9F0F4F
	v_pk_mul_f32 v[4:5], v[80:81], v[80:81]                    // 00000000C128: D3B14004 1802A150
	v_pk_mul_f32 v[6:7], v[82:83], v[82:83]                    // 00000000C130: D3B14006 1802A552
	v_pk_fma_f32 v[4:5], v[4:5], s[78:79], v[8:9]              // 00000000C138: D3B04004 1C209D04
	v_pk_fma_f32 v[6:7], v[6:7], s[78:79], v[8:9]              // 00000000C140: D3B04006 1C209D06
	v_pk_mul_f32 v[4:5], v[4:5], v[80:81]                      // 00000000C148: D3B14004 1802A104
	v_pk_mul_f32 v[6:7], v[6:7], v[82:83]                      // 00000000C150: D3B14006 1802A506
	v_pk_mul_f32 v[4:5], v[4:5], s[60:61]                      // 00000000C158: D3B14004 18007904
	v_pk_mul_f32 v[6:7], v[6:7], s[60:61]                      // 00000000C160: D3B14006 18007906
	v_exp_f32_e32 v4, v4                                       // 00000000C168: 7E084104
	v_exp_f32_e32 v5, v5                                       // 00000000C16C: 7E0A4105
	v_exp_f32_e32 v6, v6                                       // 00000000C170: 7E0C4106
	v_exp_f32_e32 v7, v7                                       // 00000000C174: 7E0E4107
	v_add_f32_e64 v4, v4, 1.0                                  // 00000000C178: D1010004 0001E504
	v_add_f32_e64 v5, v5, 1.0                                  // 00000000C180: D1010005 0001E505
	v_add_f32_e64 v6, v6, 1.0                                  // 00000000C188: D1010006 0001E506
	v_add_f32_e64 v7, v7, 1.0                                  // 00000000C190: D1010007 0001E507
	v_rcp_f32_e32 v4, v4                                       // 00000000C198: 7E084504
	v_rcp_f32_e32 v5, v5                                       // 00000000C19C: 7E0A4505
	v_rcp_f32_e32 v6, v6                                       // 00000000C1A0: 7E0C4506
	v_rcp_f32_e32 v7, v7                                       // 00000000C1A4: 7E0E4507
	v_mul_f32_e32 v80, v80, v4                                 // 00000000C1A8: 0AA00950
	v_mul_f32_e32 v81, v81, v5                                 // 00000000C1AC: 0AA20B51
	v_mul_f32_e32 v82, v82, v6                                 // 00000000C1B0: 0AA40D52
	v_mul_f32_e32 v83, v83, v7                                 // 00000000C1B4: 0AA60F53
	v_mul_f32_e32 v80, v80, v136                               // 00000000C1B8: 0AA11150
	v_mul_f32_e32 v81, v81, v137                               // 00000000C1BC: 0AA31351
	v_mul_f32_e32 v82, v82, v138                               // 00000000C1C0: 0AA51552
	v_mul_f32_e32 v83, v83, v139                               // 00000000C1C4: 0AA71753
	v_pk_mul_f32 v[4:5], v[84:85], v[84:85]                    // 00000000C1C8: D3B14004 1802A954
	v_pk_mul_f32 v[6:7], v[86:87], v[86:87]                    // 00000000C1D0: D3B14006 1802AD56
	v_pk_fma_f32 v[4:5], v[4:5], s[78:79], v[8:9]              // 00000000C1D8: D3B04004 1C209D04
	v_pk_fma_f32 v[6:7], v[6:7], s[78:79], v[8:9]              // 00000000C1E0: D3B04006 1C209D06
	v_pk_mul_f32 v[4:5], v[4:5], v[84:85]                      // 00000000C1E8: D3B14004 1802A904
	v_pk_mul_f32 v[6:7], v[6:7], v[86:87]                      // 00000000C1F0: D3B14006 1802AD06
	v_pk_mul_f32 v[4:5], v[4:5], s[60:61]                      // 00000000C1F8: D3B14004 18007904
	v_pk_mul_f32 v[6:7], v[6:7], s[60:61]                      // 00000000C200: D3B14006 18007906
	v_exp_f32_e32 v4, v4                                       // 00000000C208: 7E084104
	v_exp_f32_e32 v5, v5                                       // 00000000C20C: 7E0A4105
	v_exp_f32_e32 v6, v6                                       // 00000000C210: 7E0C4106
	v_exp_f32_e32 v7, v7                                       // 00000000C214: 7E0E4107
	v_add_f32_e64 v4, v4, 1.0                                  // 00000000C218: D1010004 0001E504
	v_add_f32_e64 v5, v5, 1.0                                  // 00000000C220: D1010005 0001E505
	v_add_f32_e64 v6, v6, 1.0                                  // 00000000C228: D1010006 0001E506
	v_add_f32_e64 v7, v7, 1.0                                  // 00000000C230: D1010007 0001E507
	v_rcp_f32_e32 v4, v4                                       // 00000000C238: 7E084504
	v_rcp_f32_e32 v5, v5                                       // 00000000C23C: 7E0A4505
	v_rcp_f32_e32 v6, v6                                       // 00000000C240: 7E0C4506
	v_rcp_f32_e32 v7, v7                                       // 00000000C244: 7E0E4507
	v_mul_f32_e32 v84, v84, v4                                 // 00000000C248: 0AA80954
	v_mul_f32_e32 v85, v85, v5                                 // 00000000C24C: 0AAA0B55
	v_mul_f32_e32 v86, v86, v6                                 // 00000000C250: 0AAC0D56
	v_mul_f32_e32 v87, v87, v7                                 // 00000000C254: 0AAE0F57
	v_mul_f32_e32 v84, v84, v140                               // 00000000C258: 0AA91954
	v_mul_f32_e32 v85, v85, v141                               // 00000000C25C: 0AAB1B55
	v_mul_f32_e32 v86, v86, v142                               // 00000000C260: 0AAD1D56
	v_mul_f32_e32 v87, v87, v143                               // 00000000C264: 0AAF1F57
	v_pk_mul_f32 v[4:5], v[88:89], v[88:89]                    // 00000000C268: D3B14004 1802B158
	v_pk_mul_f32 v[6:7], v[90:91], v[90:91]                    // 00000000C270: D3B14006 1802B55A
	v_pk_fma_f32 v[4:5], v[4:5], s[78:79], v[8:9]              // 00000000C278: D3B04004 1C209D04
	v_pk_fma_f32 v[6:7], v[6:7], s[78:79], v[8:9]              // 00000000C280: D3B04006 1C209D06
	v_pk_mul_f32 v[4:5], v[4:5], v[88:89]                      // 00000000C288: D3B14004 1802B104
	v_pk_mul_f32 v[6:7], v[6:7], v[90:91]                      // 00000000C290: D3B14006 1802B506
	v_pk_mul_f32 v[4:5], v[4:5], s[60:61]                      // 00000000C298: D3B14004 18007904
	v_pk_mul_f32 v[6:7], v[6:7], s[60:61]                      // 00000000C2A0: D3B14006 18007906
	v_exp_f32_e32 v4, v4                                       // 00000000C2A8: 7E084104
	v_exp_f32_e32 v5, v5                                       // 00000000C2AC: 7E0A4105
	v_exp_f32_e32 v6, v6                                       // 00000000C2B0: 7E0C4106
	v_exp_f32_e32 v7, v7                                       // 00000000C2B4: 7E0E4107
	v_add_f32_e64 v4, v4, 1.0                                  // 00000000C2B8: D1010004 0001E504
	v_add_f32_e64 v5, v5, 1.0                                  // 00000000C2C0: D1010005 0001E505
	v_add_f32_e64 v6, v6, 1.0                                  // 00000000C2C8: D1010006 0001E506
	v_add_f32_e64 v7, v7, 1.0                                  // 00000000C2D0: D1010007 0001E507
	v_rcp_f32_e32 v4, v4                                       // 00000000C2D8: 7E084504
	v_rcp_f32_e32 v5, v5                                       // 00000000C2DC: 7E0A4505
	v_rcp_f32_e32 v6, v6                                       // 00000000C2E0: 7E0C4506
	v_rcp_f32_e32 v7, v7                                       // 00000000C2E4: 7E0E4507
	v_mul_f32_e32 v88, v88, v4                                 // 00000000C2E8: 0AB00958
	v_mul_f32_e32 v89, v89, v5                                 // 00000000C2EC: 0AB20B59
	v_mul_f32_e32 v90, v90, v6                                 // 00000000C2F0: 0AB40D5A
	v_mul_f32_e32 v91, v91, v7                                 // 00000000C2F4: 0AB60F5B
	v_mul_f32_e32 v88, v88, v144                               // 00000000C2F8: 0AB12158
	v_mul_f32_e32 v89, v89, v145                               // 00000000C2FC: 0AB32359
	v_mul_f32_e32 v90, v90, v146                               // 00000000C300: 0AB5255A
	v_mul_f32_e32 v91, v91, v147                               // 00000000C304: 0AB7275B
	v_pk_mul_f32 v[4:5], v[92:93], v[92:93]                    // 00000000C308: D3B14004 1802B95C
	v_pk_mul_f32 v[6:7], v[94:95], v[94:95]                    // 00000000C310: D3B14006 1802BD5E
	v_pk_fma_f32 v[4:5], v[4:5], s[78:79], v[8:9]              // 00000000C318: D3B04004 1C209D04
	v_pk_fma_f32 v[6:7], v[6:7], s[78:79], v[8:9]              // 00000000C320: D3B04006 1C209D06
	v_pk_mul_f32 v[4:5], v[4:5], v[92:93]                      // 00000000C328: D3B14004 1802B904
	v_pk_mul_f32 v[6:7], v[6:7], v[94:95]                      // 00000000C330: D3B14006 1802BD06
	v_pk_mul_f32 v[4:5], v[4:5], s[60:61]                      // 00000000C338: D3B14004 18007904
	v_pk_mul_f32 v[6:7], v[6:7], s[60:61]                      // 00000000C340: D3B14006 18007906
	v_exp_f32_e32 v4, v4                                       // 00000000C348: 7E084104
	v_exp_f32_e32 v5, v5                                       // 00000000C34C: 7E0A4105
	v_exp_f32_e32 v6, v6                                       // 00000000C350: 7E0C4106
	v_exp_f32_e32 v7, v7                                       // 00000000C354: 7E0E4107
	v_add_f32_e64 v4, v4, 1.0                                  // 00000000C358: D1010004 0001E504
	v_add_f32_e64 v5, v5, 1.0                                  // 00000000C360: D1010005 0001E505
	v_add_f32_e64 v6, v6, 1.0                                  // 00000000C368: D1010006 0001E506
	v_add_f32_e64 v7, v7, 1.0                                  // 00000000C370: D1010007 0001E507
	v_rcp_f32_e32 v4, v4                                       // 00000000C378: 7E084504
	v_rcp_f32_e32 v5, v5                                       // 00000000C37C: 7E0A4505
	v_rcp_f32_e32 v6, v6                                       // 00000000C380: 7E0C4506
	v_rcp_f32_e32 v7, v7                                       // 00000000C384: 7E0E4507
	v_mul_f32_e32 v92, v92, v4                                 // 00000000C388: 0AB8095C
	v_mul_f32_e32 v93, v93, v5                                 // 00000000C38C: 0ABA0B5D
	v_mul_f32_e32 v94, v94, v6                                 // 00000000C390: 0ABC0D5E
	v_mul_f32_e32 v95, v95, v7                                 // 00000000C394: 0ABE0F5F
	v_mul_f32_e32 v92, v92, v148                               // 00000000C398: 0AB9295C
	v_mul_f32_e32 v93, v93, v149                               // 00000000C39C: 0ABB2B5D
	v_mul_f32_e32 v94, v94, v150                               // 00000000C3A0: 0ABD2D5E
	v_mul_f32_e32 v95, v95, v151                               // 00000000C3A4: 0ABF2F5F
	v_pk_mul_f32 v[4:5], v[96:97], v[96:97]                    // 00000000C3A8: D3B14004 1802C160
	v_pk_mul_f32 v[6:7], v[98:99], v[98:99]                    // 00000000C3B0: D3B14006 1802C562
	v_pk_fma_f32 v[4:5], v[4:5], s[78:79], v[8:9]              // 00000000C3B8: D3B04004 1C209D04
	v_pk_fma_f32 v[6:7], v[6:7], s[78:79], v[8:9]              // 00000000C3C0: D3B04006 1C209D06
	v_pk_mul_f32 v[4:5], v[4:5], v[96:97]                      // 00000000C3C8: D3B14004 1802C104
	v_pk_mul_f32 v[6:7], v[6:7], v[98:99]                      // 00000000C3D0: D3B14006 1802C506
	v_pk_mul_f32 v[4:5], v[4:5], s[60:61]                      // 00000000C3D8: D3B14004 18007904
	v_pk_mul_f32 v[6:7], v[6:7], s[60:61]                      // 00000000C3E0: D3B14006 18007906
	v_exp_f32_e32 v4, v4                                       // 00000000C3E8: 7E084104
	v_exp_f32_e32 v5, v5                                       // 00000000C3EC: 7E0A4105
	v_exp_f32_e32 v6, v6                                       // 00000000C3F0: 7E0C4106
	v_exp_f32_e32 v7, v7                                       // 00000000C3F4: 7E0E4107
	v_add_f32_e64 v4, v4, 1.0                                  // 00000000C3F8: D1010004 0001E504
	v_add_f32_e64 v5, v5, 1.0                                  // 00000000C400: D1010005 0001E505
	v_add_f32_e64 v6, v6, 1.0                                  // 00000000C408: D1010006 0001E506
	v_add_f32_e64 v7, v7, 1.0                                  // 00000000C410: D1010007 0001E507
	v_rcp_f32_e32 v4, v4                                       // 00000000C418: 7E084504
	v_rcp_f32_e32 v5, v5                                       // 00000000C41C: 7E0A4505
	v_rcp_f32_e32 v6, v6                                       // 00000000C420: 7E0C4506
	v_rcp_f32_e32 v7, v7                                       // 00000000C424: 7E0E4507
	v_mul_f32_e32 v96, v96, v4                                 // 00000000C428: 0AC00960
	v_mul_f32_e32 v97, v97, v5                                 // 00000000C42C: 0AC20B61
	v_mul_f32_e32 v98, v98, v6                                 // 00000000C430: 0AC40D62
	v_mul_f32_e32 v99, v99, v7                                 // 00000000C434: 0AC60F63
	v_mul_f32_e32 v96, v96, v152                               // 00000000C438: 0AC13160
	v_mul_f32_e32 v97, v97, v153                               // 00000000C43C: 0AC33361
	v_mul_f32_e32 v98, v98, v154                               // 00000000C440: 0AC53562
	v_mul_f32_e32 v99, v99, v155                               // 00000000C444: 0AC73763
	v_pk_mul_f32 v[4:5], v[100:101], v[100:101]                // 00000000C448: D3B14004 1802C964
	v_pk_mul_f32 v[6:7], v[102:103], v[102:103]                // 00000000C450: D3B14006 1802CD66
	v_pk_fma_f32 v[4:5], v[4:5], s[78:79], v[8:9]              // 00000000C458: D3B04004 1C209D04
	v_pk_fma_f32 v[6:7], v[6:7], s[78:79], v[8:9]              // 00000000C460: D3B04006 1C209D06
	v_pk_mul_f32 v[4:5], v[4:5], v[100:101]                    // 00000000C468: D3B14004 1802C904
	v_pk_mul_f32 v[6:7], v[6:7], v[102:103]                    // 00000000C470: D3B14006 1802CD06
	v_pk_mul_f32 v[4:5], v[4:5], s[60:61]                      // 00000000C478: D3B14004 18007904
	v_pk_mul_f32 v[6:7], v[6:7], s[60:61]                      // 00000000C480: D3B14006 18007906
	v_exp_f32_e32 v4, v4                                       // 00000000C488: 7E084104
	v_exp_f32_e32 v5, v5                                       // 00000000C48C: 7E0A4105
	v_exp_f32_e32 v6, v6                                       // 00000000C490: 7E0C4106
	v_exp_f32_e32 v7, v7                                       // 00000000C494: 7E0E4107
	v_add_f32_e64 v4, v4, 1.0                                  // 00000000C498: D1010004 0001E504
	v_add_f32_e64 v5, v5, 1.0                                  // 00000000C4A0: D1010005 0001E505
	v_add_f32_e64 v6, v6, 1.0                                  // 00000000C4A8: D1010006 0001E506
	v_add_f32_e64 v7, v7, 1.0                                  // 00000000C4B0: D1010007 0001E507
	v_rcp_f32_e32 v4, v4                                       // 00000000C4B8: 7E084504
	v_rcp_f32_e32 v5, v5                                       // 00000000C4BC: 7E0A4505
	v_rcp_f32_e32 v6, v6                                       // 00000000C4C0: 7E0C4506
	v_rcp_f32_e32 v7, v7                                       // 00000000C4C4: 7E0E4507
	v_mul_f32_e32 v100, v100, v4                               // 00000000C4C8: 0AC80964
	v_mul_f32_e32 v101, v101, v5                               // 00000000C4CC: 0ACA0B65
	v_mul_f32_e32 v102, v102, v6                               // 00000000C4D0: 0ACC0D66
	v_mul_f32_e32 v103, v103, v7                               // 00000000C4D4: 0ACE0F67
	v_mul_f32_e32 v100, v100, v156                             // 00000000C4D8: 0AC93964
	v_mul_f32_e32 v101, v101, v157                             // 00000000C4DC: 0ACB3B65
	v_mul_f32_e32 v102, v102, v158                             // 00000000C4E0: 0ACD3D66
	v_mul_f32_e32 v103, v103, v159                             // 00000000C4E4: 0ACF3F67
	v_pk_mul_f32 v[4:5], v[104:105], v[104:105]                // 00000000C4E8: D3B14004 1802D168
	v_pk_mul_f32 v[6:7], v[106:107], v[106:107]                // 00000000C4F0: D3B14006 1802D56A
	v_pk_fma_f32 v[4:5], v[4:5], s[78:79], v[8:9]              // 00000000C4F8: D3B04004 1C209D04
	v_pk_fma_f32 v[6:7], v[6:7], s[78:79], v[8:9]              // 00000000C500: D3B04006 1C209D06
	v_pk_mul_f32 v[4:5], v[4:5], v[104:105]                    // 00000000C508: D3B14004 1802D104
	v_pk_mul_f32 v[6:7], v[6:7], v[106:107]                    // 00000000C510: D3B14006 1802D506
	v_pk_mul_f32 v[4:5], v[4:5], s[60:61]                      // 00000000C518: D3B14004 18007904
	v_pk_mul_f32 v[6:7], v[6:7], s[60:61]                      // 00000000C520: D3B14006 18007906
	v_exp_f32_e32 v4, v4                                       // 00000000C528: 7E084104
	v_exp_f32_e32 v5, v5                                       // 00000000C52C: 7E0A4105
	v_exp_f32_e32 v6, v6                                       // 00000000C530: 7E0C4106
	v_exp_f32_e32 v7, v7                                       // 00000000C534: 7E0E4107
	v_add_f32_e64 v4, v4, 1.0                                  // 00000000C538: D1010004 0001E504
	v_add_f32_e64 v5, v5, 1.0                                  // 00000000C540: D1010005 0001E505
	v_add_f32_e64 v6, v6, 1.0                                  // 00000000C548: D1010006 0001E506
	v_add_f32_e64 v7, v7, 1.0                                  // 00000000C550: D1010007 0001E507
	v_rcp_f32_e32 v4, v4                                       // 00000000C558: 7E084504
	v_rcp_f32_e32 v5, v5                                       // 00000000C55C: 7E0A4505
	v_rcp_f32_e32 v6, v6                                       // 00000000C560: 7E0C4506
	v_rcp_f32_e32 v7, v7                                       // 00000000C564: 7E0E4507
	v_mul_f32_e32 v104, v104, v4                               // 00000000C568: 0AD00968
	v_mul_f32_e32 v105, v105, v5                               // 00000000C56C: 0AD20B69
	v_mul_f32_e32 v106, v106, v6                               // 00000000C570: 0AD40D6A
	v_mul_f32_e32 v107, v107, v7                               // 00000000C574: 0AD60F6B
	v_mul_f32_e32 v104, v104, v160                             // 00000000C578: 0AD14168
	v_mul_f32_e32 v105, v105, v161                             // 00000000C57C: 0AD34369
	v_mul_f32_e32 v106, v106, v162                             // 00000000C580: 0AD5456A
	v_mul_f32_e32 v107, v107, v163                             // 00000000C584: 0AD7476B
	v_pk_mul_f32 v[4:5], v[108:109], v[108:109]                // 00000000C588: D3B14004 1802D96C
	v_pk_mul_f32 v[6:7], v[110:111], v[110:111]                // 00000000C590: D3B14006 1802DD6E
	v_pk_fma_f32 v[4:5], v[4:5], s[78:79], v[8:9]              // 00000000C598: D3B04004 1C209D04
	v_pk_fma_f32 v[6:7], v[6:7], s[78:79], v[8:9]              // 00000000C5A0: D3B04006 1C209D06
	v_pk_mul_f32 v[4:5], v[4:5], v[108:109]                    // 00000000C5A8: D3B14004 1802D904
	v_pk_mul_f32 v[6:7], v[6:7], v[110:111]                    // 00000000C5B0: D3B14006 1802DD06
	v_pk_mul_f32 v[4:5], v[4:5], s[60:61]                      // 00000000C5B8: D3B14004 18007904
	v_pk_mul_f32 v[6:7], v[6:7], s[60:61]                      // 00000000C5C0: D3B14006 18007906
	v_exp_f32_e32 v4, v4                                       // 00000000C5C8: 7E084104
	v_exp_f32_e32 v5, v5                                       // 00000000C5CC: 7E0A4105
	v_exp_f32_e32 v6, v6                                       // 00000000C5D0: 7E0C4106
	v_exp_f32_e32 v7, v7                                       // 00000000C5D4: 7E0E4107
	v_add_f32_e64 v4, v4, 1.0                                  // 00000000C5D8: D1010004 0001E504
	v_add_f32_e64 v5, v5, 1.0                                  // 00000000C5E0: D1010005 0001E505
	v_add_f32_e64 v6, v6, 1.0                                  // 00000000C5E8: D1010006 0001E506
	v_add_f32_e64 v7, v7, 1.0                                  // 00000000C5F0: D1010007 0001E507
	v_rcp_f32_e32 v4, v4                                       // 00000000C5F8: 7E084504
	v_rcp_f32_e32 v5, v5                                       // 00000000C5FC: 7E0A4505
	v_rcp_f32_e32 v6, v6                                       // 00000000C600: 7E0C4506
	v_rcp_f32_e32 v7, v7                                       // 00000000C604: 7E0E4507
	v_mul_f32_e32 v108, v108, v4                               // 00000000C608: 0AD8096C
	v_mul_f32_e32 v109, v109, v5                               // 00000000C60C: 0ADA0B6D
	v_mul_f32_e32 v110, v110, v6                               // 00000000C610: 0ADC0D6E
	v_mul_f32_e32 v111, v111, v7                               // 00000000C614: 0ADE0F6F
	v_mul_f32_e32 v108, v108, v164                             // 00000000C618: 0AD9496C
	v_mul_f32_e32 v109, v109, v165                             // 00000000C61C: 0ADB4B6D
	v_mul_f32_e32 v110, v110, v166                             // 00000000C620: 0ADD4D6E
	v_mul_f32_e32 v111, v111, v167                             // 00000000C624: 0ADF4F6F
	v_pk_mul_f32 v[4:5], v[112:113], v[112:113]                // 00000000C628: D3B14004 1802E170
	v_pk_mul_f32 v[6:7], v[114:115], v[114:115]                // 00000000C630: D3B14006 1802E572
	v_pk_fma_f32 v[4:5], v[4:5], s[78:79], v[8:9]              // 00000000C638: D3B04004 1C209D04
	v_pk_fma_f32 v[6:7], v[6:7], s[78:79], v[8:9]              // 00000000C640: D3B04006 1C209D06
	v_pk_mul_f32 v[4:5], v[4:5], v[112:113]                    // 00000000C648: D3B14004 1802E104
	v_pk_mul_f32 v[6:7], v[6:7], v[114:115]                    // 00000000C650: D3B14006 1802E506
	v_pk_mul_f32 v[4:5], v[4:5], s[60:61]                      // 00000000C658: D3B14004 18007904
	v_pk_mul_f32 v[6:7], v[6:7], s[60:61]                      // 00000000C660: D3B14006 18007906
	v_exp_f32_e32 v4, v4                                       // 00000000C668: 7E084104
	v_exp_f32_e32 v5, v5                                       // 00000000C66C: 7E0A4105
	v_exp_f32_e32 v6, v6                                       // 00000000C670: 7E0C4106
	v_exp_f32_e32 v7, v7                                       // 00000000C674: 7E0E4107
	v_add_f32_e64 v4, v4, 1.0                                  // 00000000C678: D1010004 0001E504
	v_add_f32_e64 v5, v5, 1.0                                  // 00000000C680: D1010005 0001E505
	v_add_f32_e64 v6, v6, 1.0                                  // 00000000C688: D1010006 0001E506
	v_add_f32_e64 v7, v7, 1.0                                  // 00000000C690: D1010007 0001E507
	v_rcp_f32_e32 v4, v4                                       // 00000000C698: 7E084504
	v_rcp_f32_e32 v5, v5                                       // 00000000C69C: 7E0A4505
	v_rcp_f32_e32 v6, v6                                       // 00000000C6A0: 7E0C4506
	v_rcp_f32_e32 v7, v7                                       // 00000000C6A4: 7E0E4507
	v_mul_f32_e32 v112, v112, v4                               // 00000000C6A8: 0AE00970
	v_mul_f32_e32 v113, v113, v5                               // 00000000C6AC: 0AE20B71
	v_mul_f32_e32 v114, v114, v6                               // 00000000C6B0: 0AE40D72
	v_mul_f32_e32 v115, v115, v7                               // 00000000C6B4: 0AE60F73
	v_mul_f32_e32 v112, v112, v168                             // 00000000C6B8: 0AE15170
	v_mul_f32_e32 v113, v113, v169                             // 00000000C6BC: 0AE35371
	v_mul_f32_e32 v114, v114, v170                             // 00000000C6C0: 0AE55572
	v_mul_f32_e32 v115, v115, v171                             // 00000000C6C4: 0AE75773
	v_pk_mul_f32 v[4:5], v[116:117], v[116:117]                // 00000000C6C8: D3B14004 1802E974
	v_pk_mul_f32 v[6:7], v[118:119], v[118:119]                // 00000000C6D0: D3B14006 1802ED76
	v_pk_fma_f32 v[4:5], v[4:5], s[78:79], v[8:9]              // 00000000C6D8: D3B04004 1C209D04
	v_pk_fma_f32 v[6:7], v[6:7], s[78:79], v[8:9]              // 00000000C6E0: D3B04006 1C209D06
	v_pk_mul_f32 v[4:5], v[4:5], v[116:117]                    // 00000000C6E8: D3B14004 1802E904
	v_pk_mul_f32 v[6:7], v[6:7], v[118:119]                    // 00000000C6F0: D3B14006 1802ED06
	v_pk_mul_f32 v[4:5], v[4:5], s[60:61]                      // 00000000C6F8: D3B14004 18007904
	v_pk_mul_f32 v[6:7], v[6:7], s[60:61]                      // 00000000C700: D3B14006 18007906
	v_exp_f32_e32 v4, v4                                       // 00000000C708: 7E084104
	v_exp_f32_e32 v5, v5                                       // 00000000C70C: 7E0A4105
	v_exp_f32_e32 v6, v6                                       // 00000000C710: 7E0C4106
	v_exp_f32_e32 v7, v7                                       // 00000000C714: 7E0E4107
	v_add_f32_e64 v4, v4, 1.0                                  // 00000000C718: D1010004 0001E504
	v_add_f32_e64 v5, v5, 1.0                                  // 00000000C720: D1010005 0001E505
	v_add_f32_e64 v6, v6, 1.0                                  // 00000000C728: D1010006 0001E506
	v_add_f32_e64 v7, v7, 1.0                                  // 00000000C730: D1010007 0001E507
	v_rcp_f32_e32 v4, v4                                       // 00000000C738: 7E084504
	v_rcp_f32_e32 v5, v5                                       // 00000000C73C: 7E0A4505
	v_rcp_f32_e32 v6, v6                                       // 00000000C740: 7E0C4506
	v_rcp_f32_e32 v7, v7                                       // 00000000C744: 7E0E4507
	v_mul_f32_e32 v116, v116, v4                               // 00000000C748: 0AE80974
	v_mul_f32_e32 v117, v117, v5                               // 00000000C74C: 0AEA0B75
	v_mul_f32_e32 v118, v118, v6                               // 00000000C750: 0AEC0D76
	v_mul_f32_e32 v119, v119, v7                               // 00000000C754: 0AEE0F77
	v_mul_f32_e32 v116, v116, v172                             // 00000000C758: 0AE95974
	v_mul_f32_e32 v117, v117, v173                             // 00000000C75C: 0AEB5B75
	v_mul_f32_e32 v118, v118, v174                             // 00000000C760: 0AED5D76
	v_mul_f32_e32 v119, v119, v175                             // 00000000C764: 0AEF5F77
	v_pk_mul_f32 v[4:5], v[120:121], v[120:121]                // 00000000C768: D3B14004 1802F178
	v_pk_mul_f32 v[6:7], v[122:123], v[122:123]                // 00000000C770: D3B14006 1802F57A
	v_pk_fma_f32 v[4:5], v[4:5], s[78:79], v[8:9]              // 00000000C778: D3B04004 1C209D04
	v_pk_fma_f32 v[6:7], v[6:7], s[78:79], v[8:9]              // 00000000C780: D3B04006 1C209D06
	v_pk_mul_f32 v[4:5], v[4:5], v[120:121]                    // 00000000C788: D3B14004 1802F104
	v_pk_mul_f32 v[6:7], v[6:7], v[122:123]                    // 00000000C790: D3B14006 1802F506
	v_pk_mul_f32 v[4:5], v[4:5], s[60:61]                      // 00000000C798: D3B14004 18007904
	v_pk_mul_f32 v[6:7], v[6:7], s[60:61]                      // 00000000C7A0: D3B14006 18007906
	v_exp_f32_e32 v4, v4                                       // 00000000C7A8: 7E084104
	v_exp_f32_e32 v5, v5                                       // 00000000C7AC: 7E0A4105
	v_exp_f32_e32 v6, v6                                       // 00000000C7B0: 7E0C4106
	v_exp_f32_e32 v7, v7                                       // 00000000C7B4: 7E0E4107
	v_add_f32_e64 v4, v4, 1.0                                  // 00000000C7B8: D1010004 0001E504
	v_add_f32_e64 v5, v5, 1.0                                  // 00000000C7C0: D1010005 0001E505
	v_add_f32_e64 v6, v6, 1.0                                  // 00000000C7C8: D1010006 0001E506
	v_add_f32_e64 v7, v7, 1.0                                  // 00000000C7D0: D1010007 0001E507
	v_rcp_f32_e32 v4, v4                                       // 00000000C7D8: 7E084504
	v_rcp_f32_e32 v5, v5                                       // 00000000C7DC: 7E0A4505
	v_rcp_f32_e32 v6, v6                                       // 00000000C7E0: 7E0C4506
	v_rcp_f32_e32 v7, v7                                       // 00000000C7E4: 7E0E4507
	v_mul_f32_e32 v120, v120, v4                               // 00000000C7E8: 0AF00978
	v_mul_f32_e32 v121, v121, v5                               // 00000000C7EC: 0AF20B79
	v_mul_f32_e32 v122, v122, v6                               // 00000000C7F0: 0AF40D7A
	v_mul_f32_e32 v123, v123, v7                               // 00000000C7F4: 0AF60F7B
	v_mul_f32_e32 v120, v120, v176                             // 00000000C7F8: 0AF16178
	v_mul_f32_e32 v121, v121, v177                             // 00000000C7FC: 0AF36379
	v_mul_f32_e32 v122, v122, v178                             // 00000000C800: 0AF5657A
	v_mul_f32_e32 v123, v123, v179                             // 00000000C804: 0AF7677B
	v_pk_mul_f32 v[4:5], v[124:125], v[124:125]                // 00000000C808: D3B14004 1802F97C
	v_pk_mul_f32 v[6:7], v[126:127], v[126:127]                // 00000000C810: D3B14006 1802FD7E
	v_pk_fma_f32 v[4:5], v[4:5], s[78:79], v[8:9]              // 00000000C818: D3B04004 1C209D04
	v_pk_fma_f32 v[6:7], v[6:7], s[78:79], v[8:9]              // 00000000C820: D3B04006 1C209D06
	v_pk_mul_f32 v[4:5], v[4:5], v[124:125]                    // 00000000C828: D3B14004 1802F904
	v_pk_mul_f32 v[6:7], v[6:7], v[126:127]                    // 00000000C830: D3B14006 1802FD06
	v_pk_mul_f32 v[4:5], v[4:5], s[60:61]                      // 00000000C838: D3B14004 18007904
	v_pk_mul_f32 v[6:7], v[6:7], s[60:61]                      // 00000000C840: D3B14006 18007906
	v_exp_f32_e32 v4, v4                                       // 00000000C848: 7E084104
	v_exp_f32_e32 v5, v5                                       // 00000000C84C: 7E0A4105
	v_exp_f32_e32 v6, v6                                       // 00000000C850: 7E0C4106
	v_exp_f32_e32 v7, v7                                       // 00000000C854: 7E0E4107
	v_add_f32_e64 v4, v4, 1.0                                  // 00000000C858: D1010004 0001E504
	v_add_f32_e64 v5, v5, 1.0                                  // 00000000C860: D1010005 0001E505
	v_add_f32_e64 v6, v6, 1.0                                  // 00000000C868: D1010006 0001E506
	v_add_f32_e64 v7, v7, 1.0                                  // 00000000C870: D1010007 0001E507
	v_rcp_f32_e32 v4, v4                                       // 00000000C878: 7E084504
	v_rcp_f32_e32 v5, v5                                       // 00000000C87C: 7E0A4505
	v_rcp_f32_e32 v6, v6                                       // 00000000C880: 7E0C4506
	v_rcp_f32_e32 v7, v7                                       // 00000000C884: 7E0E4507
	v_mul_f32_e32 v124, v124, v4                               // 00000000C888: 0AF8097C
	v_mul_f32_e32 v125, v125, v5                               // 00000000C88C: 0AFA0B7D
	v_mul_f32_e32 v126, v126, v6                               // 00000000C890: 0AFC0D7E
	v_mul_f32_e32 v127, v127, v7                               // 00000000C894: 0AFE0F7F
	v_mul_f32_e32 v124, v124, v180                             // 00000000C898: 0AF9697C
	v_mul_f32_e32 v125, v125, v181                             // 00000000C89C: 0AFB6B7D
	v_mul_f32_e32 v126, v126, v182                             // 00000000C8A0: 0AFD6D7E
	v_mul_f32_e32 v127, v127, v183                             // 00000000C8A4: 0AFF6F7F
	v_pk_mul_f32 v[4:5], v[128:129], v[128:129]                // 00000000C8A8: D3B14004 18030180
	v_pk_mul_f32 v[6:7], v[130:131], v[130:131]                // 00000000C8B0: D3B14006 18030582
	v_pk_fma_f32 v[4:5], v[4:5], s[78:79], v[8:9]              // 00000000C8B8: D3B04004 1C209D04
	v_pk_fma_f32 v[6:7], v[6:7], s[78:79], v[8:9]              // 00000000C8C0: D3B04006 1C209D06
	v_pk_mul_f32 v[4:5], v[4:5], v[128:129]                    // 00000000C8C8: D3B14004 18030104
	v_pk_mul_f32 v[6:7], v[6:7], v[130:131]                    // 00000000C8D0: D3B14006 18030506
	v_pk_mul_f32 v[4:5], v[4:5], s[60:61]                      // 00000000C8D8: D3B14004 18007904
	v_pk_mul_f32 v[6:7], v[6:7], s[60:61]                      // 00000000C8E0: D3B14006 18007906
	v_exp_f32_e32 v4, v4                                       // 00000000C8E8: 7E084104
	v_exp_f32_e32 v5, v5                                       // 00000000C8EC: 7E0A4105
	v_exp_f32_e32 v6, v6                                       // 00000000C8F0: 7E0C4106
	v_exp_f32_e32 v7, v7                                       // 00000000C8F4: 7E0E4107
	v_add_f32_e64 v4, v4, 1.0                                  // 00000000C8F8: D1010004 0001E504
	v_add_f32_e64 v5, v5, 1.0                                  // 00000000C900: D1010005 0001E505
	v_add_f32_e64 v6, v6, 1.0                                  // 00000000C908: D1010006 0001E506
	v_add_f32_e64 v7, v7, 1.0                                  // 00000000C910: D1010007 0001E507
	v_rcp_f32_e32 v4, v4                                       // 00000000C918: 7E084504
	v_rcp_f32_e32 v5, v5                                       // 00000000C91C: 7E0A4505
	v_rcp_f32_e32 v6, v6                                       // 00000000C920: 7E0C4506
	v_rcp_f32_e32 v7, v7                                       // 00000000C924: 7E0E4507
	v_mul_f32_e32 v128, v128, v4                               // 00000000C928: 0B000980
	v_mul_f32_e32 v129, v129, v5                               // 00000000C92C: 0B020B81
	v_mul_f32_e32 v130, v130, v6                               // 00000000C930: 0B040D82
	v_mul_f32_e32 v131, v131, v7                               // 00000000C934: 0B060F83
	v_mul_f32_e32 v128, v128, v184                             // 00000000C938: 0B017180
	v_mul_f32_e32 v129, v129, v185                             // 00000000C93C: 0B037381
	v_mul_f32_e32 v130, v130, v186                             // 00000000C940: 0B057582
	v_mul_f32_e32 v131, v131, v187                             // 00000000C944: 0B077783
	s_branch label_2996                                        // 00000000C948: BF8201C0

000000000000c94c <label_27D6>:
	v_mul_f32_e64 v4, -v76, s6                                 // 00000000C94C: D1050004 20000D4C
	v_mul_f32_e64 v5, -v77, s6                                 // 00000000C954: D1050005 20000D4D
	v_mul_f32_e64 v6, -v78, s6                                 // 00000000C95C: D1050006 20000D4E
	v_mul_f32_e64 v7, -v79, s6                                 // 00000000C964: D1050007 20000D4F
	v_exp_f32_e32 v4, v4                                       // 00000000C96C: 7E084104
	v_exp_f32_e32 v5, v5                                       // 00000000C970: 7E0A4105
	v_exp_f32_e32 v6, v6                                       // 00000000C974: 7E0C4106
	v_exp_f32_e32 v7, v7                                       // 00000000C978: 7E0E4107
	v_add_f32_e64 v4, v4, 1.0                                  // 00000000C97C: D1010004 0001E504
	v_add_f32_e64 v5, v5, 1.0                                  // 00000000C984: D1010005 0001E505
	v_add_f32_e64 v6, v6, 1.0                                  // 00000000C98C: D1010006 0001E506
	v_add_f32_e64 v7, v7, 1.0                                  // 00000000C994: D1010007 0001E507
	v_rcp_f32_e32 v4, v4                                       // 00000000C99C: 7E084504
	v_rcp_f32_e32 v5, v5                                       // 00000000C9A0: 7E0A4505
	v_rcp_f32_e32 v6, v6                                       // 00000000C9A4: 7E0C4506
	v_rcp_f32_e32 v7, v7                                       // 00000000C9A8: 7E0E4507
	v_mul_f32_e32 v76, v76, v4                                 // 00000000C9AC: 0A98094C
	v_mul_f32_e32 v77, v77, v5                                 // 00000000C9B0: 0A9A0B4D
	v_mul_f32_e32 v78, v78, v6                                 // 00000000C9B4: 0A9C0D4E
	v_mul_f32_e32 v79, v79, v7                                 // 00000000C9B8: 0A9E0F4F
	v_mul_f32_e32 v76, v76, v132                               // 00000000C9BC: 0A99094C
	v_mul_f32_e32 v77, v77, v133                               // 00000000C9C0: 0A9B0B4D
	v_mul_f32_e32 v78, v78, v134                               // 00000000C9C4: 0A9D0D4E
	v_mul_f32_e32 v79, v79, v135                               // 00000000C9C8: 0A9F0F4F
	v_mul_f32_e64 v4, -v80, s6                                 // 00000000C9CC: D1050004 20000D50
	v_mul_f32_e64 v5, -v81, s6                                 // 00000000C9D4: D1050005 20000D51
	v_mul_f32_e64 v6, -v82, s6                                 // 00000000C9DC: D1050006 20000D52
	v_mul_f32_e64 v7, -v83, s6                                 // 00000000C9E4: D1050007 20000D53
	v_exp_f32_e32 v4, v4                                       // 00000000C9EC: 7E084104
	v_exp_f32_e32 v5, v5                                       // 00000000C9F0: 7E0A4105
	v_exp_f32_e32 v6, v6                                       // 00000000C9F4: 7E0C4106
	v_exp_f32_e32 v7, v7                                       // 00000000C9F8: 7E0E4107
	v_add_f32_e64 v4, v4, 1.0                                  // 00000000C9FC: D1010004 0001E504
	v_add_f32_e64 v5, v5, 1.0                                  // 00000000CA04: D1010005 0001E505
	v_add_f32_e64 v6, v6, 1.0                                  // 00000000CA0C: D1010006 0001E506
	v_add_f32_e64 v7, v7, 1.0                                  // 00000000CA14: D1010007 0001E507
	v_rcp_f32_e32 v4, v4                                       // 00000000CA1C: 7E084504
	v_rcp_f32_e32 v5, v5                                       // 00000000CA20: 7E0A4505
	v_rcp_f32_e32 v6, v6                                       // 00000000CA24: 7E0C4506
	v_rcp_f32_e32 v7, v7                                       // 00000000CA28: 7E0E4507
	v_mul_f32_e32 v80, v80, v4                                 // 00000000CA2C: 0AA00950
	v_mul_f32_e32 v81, v81, v5                                 // 00000000CA30: 0AA20B51
	v_mul_f32_e32 v82, v82, v6                                 // 00000000CA34: 0AA40D52
	v_mul_f32_e32 v83, v83, v7                                 // 00000000CA38: 0AA60F53
	v_mul_f32_e32 v80, v80, v136                               // 00000000CA3C: 0AA11150
	v_mul_f32_e32 v81, v81, v137                               // 00000000CA40: 0AA31351
	v_mul_f32_e32 v82, v82, v138                               // 00000000CA44: 0AA51552
	v_mul_f32_e32 v83, v83, v139                               // 00000000CA48: 0AA71753
	v_mul_f32_e64 v4, -v84, s6                                 // 00000000CA4C: D1050004 20000D54
	v_mul_f32_e64 v5, -v85, s6                                 // 00000000CA54: D1050005 20000D55
	v_mul_f32_e64 v6, -v86, s6                                 // 00000000CA5C: D1050006 20000D56
	v_mul_f32_e64 v7, -v87, s6                                 // 00000000CA64: D1050007 20000D57
	v_exp_f32_e32 v4, v4                                       // 00000000CA6C: 7E084104
	v_exp_f32_e32 v5, v5                                       // 00000000CA70: 7E0A4105
	v_exp_f32_e32 v6, v6                                       // 00000000CA74: 7E0C4106
	v_exp_f32_e32 v7, v7                                       // 00000000CA78: 7E0E4107
	v_add_f32_e64 v4, v4, 1.0                                  // 00000000CA7C: D1010004 0001E504
	v_add_f32_e64 v5, v5, 1.0                                  // 00000000CA84: D1010005 0001E505
	v_add_f32_e64 v6, v6, 1.0                                  // 00000000CA8C: D1010006 0001E506
	v_add_f32_e64 v7, v7, 1.0                                  // 00000000CA94: D1010007 0001E507
	v_rcp_f32_e32 v4, v4                                       // 00000000CA9C: 7E084504
	v_rcp_f32_e32 v5, v5                                       // 00000000CAA0: 7E0A4505
	v_rcp_f32_e32 v6, v6                                       // 00000000CAA4: 7E0C4506
	v_rcp_f32_e32 v7, v7                                       // 00000000CAA8: 7E0E4507
	v_mul_f32_e32 v84, v84, v4                                 // 00000000CAAC: 0AA80954
	v_mul_f32_e32 v85, v85, v5                                 // 00000000CAB0: 0AAA0B55
	v_mul_f32_e32 v86, v86, v6                                 // 00000000CAB4: 0AAC0D56
	v_mul_f32_e32 v87, v87, v7                                 // 00000000CAB8: 0AAE0F57
	v_mul_f32_e32 v84, v84, v140                               // 00000000CABC: 0AA91954
	v_mul_f32_e32 v85, v85, v141                               // 00000000CAC0: 0AAB1B55
	v_mul_f32_e32 v86, v86, v142                               // 00000000CAC4: 0AAD1D56
	v_mul_f32_e32 v87, v87, v143                               // 00000000CAC8: 0AAF1F57
	v_mul_f32_e64 v4, -v88, s6                                 // 00000000CACC: D1050004 20000D58
	v_mul_f32_e64 v5, -v89, s6                                 // 00000000CAD4: D1050005 20000D59
	v_mul_f32_e64 v6, -v90, s6                                 // 00000000CADC: D1050006 20000D5A
	v_mul_f32_e64 v7, -v91, s6                                 // 00000000CAE4: D1050007 20000D5B
	v_exp_f32_e32 v4, v4                                       // 00000000CAEC: 7E084104
	v_exp_f32_e32 v5, v5                                       // 00000000CAF0: 7E0A4105
	v_exp_f32_e32 v6, v6                                       // 00000000CAF4: 7E0C4106
	v_exp_f32_e32 v7, v7                                       // 00000000CAF8: 7E0E4107
	v_add_f32_e64 v4, v4, 1.0                                  // 00000000CAFC: D1010004 0001E504
	v_add_f32_e64 v5, v5, 1.0                                  // 00000000CB04: D1010005 0001E505
	v_add_f32_e64 v6, v6, 1.0                                  // 00000000CB0C: D1010006 0001E506
	v_add_f32_e64 v7, v7, 1.0                                  // 00000000CB14: D1010007 0001E507
	v_rcp_f32_e32 v4, v4                                       // 00000000CB1C: 7E084504
	v_rcp_f32_e32 v5, v5                                       // 00000000CB20: 7E0A4505
	v_rcp_f32_e32 v6, v6                                       // 00000000CB24: 7E0C4506
	v_rcp_f32_e32 v7, v7                                       // 00000000CB28: 7E0E4507
	v_mul_f32_e32 v88, v88, v4                                 // 00000000CB2C: 0AB00958
	v_mul_f32_e32 v89, v89, v5                                 // 00000000CB30: 0AB20B59
	v_mul_f32_e32 v90, v90, v6                                 // 00000000CB34: 0AB40D5A
	v_mul_f32_e32 v91, v91, v7                                 // 00000000CB38: 0AB60F5B
	v_mul_f32_e32 v88, v88, v144                               // 00000000CB3C: 0AB12158
	v_mul_f32_e32 v89, v89, v145                               // 00000000CB40: 0AB32359
	v_mul_f32_e32 v90, v90, v146                               // 00000000CB44: 0AB5255A
	v_mul_f32_e32 v91, v91, v147                               // 00000000CB48: 0AB7275B
	v_mul_f32_e64 v4, -v92, s6                                 // 00000000CB4C: D1050004 20000D5C
	v_mul_f32_e64 v5, -v93, s6                                 // 00000000CB54: D1050005 20000D5D
	v_mul_f32_e64 v6, -v94, s6                                 // 00000000CB5C: D1050006 20000D5E
	v_mul_f32_e64 v7, -v95, s6                                 // 00000000CB64: D1050007 20000D5F
	v_exp_f32_e32 v4, v4                                       // 00000000CB6C: 7E084104
	v_exp_f32_e32 v5, v5                                       // 00000000CB70: 7E0A4105
	v_exp_f32_e32 v6, v6                                       // 00000000CB74: 7E0C4106
	v_exp_f32_e32 v7, v7                                       // 00000000CB78: 7E0E4107
	v_add_f32_e64 v4, v4, 1.0                                  // 00000000CB7C: D1010004 0001E504
	v_add_f32_e64 v5, v5, 1.0                                  // 00000000CB84: D1010005 0001E505
	v_add_f32_e64 v6, v6, 1.0                                  // 00000000CB8C: D1010006 0001E506
	v_add_f32_e64 v7, v7, 1.0                                  // 00000000CB94: D1010007 0001E507
	v_rcp_f32_e32 v4, v4                                       // 00000000CB9C: 7E084504
	v_rcp_f32_e32 v5, v5                                       // 00000000CBA0: 7E0A4505
	v_rcp_f32_e32 v6, v6                                       // 00000000CBA4: 7E0C4506
	v_rcp_f32_e32 v7, v7                                       // 00000000CBA8: 7E0E4507
	v_mul_f32_e32 v92, v92, v4                                 // 00000000CBAC: 0AB8095C
	v_mul_f32_e32 v93, v93, v5                                 // 00000000CBB0: 0ABA0B5D
	v_mul_f32_e32 v94, v94, v6                                 // 00000000CBB4: 0ABC0D5E
	v_mul_f32_e32 v95, v95, v7                                 // 00000000CBB8: 0ABE0F5F
	v_mul_f32_e32 v92, v92, v148                               // 00000000CBBC: 0AB9295C
	v_mul_f32_e32 v93, v93, v149                               // 00000000CBC0: 0ABB2B5D
	v_mul_f32_e32 v94, v94, v150                               // 00000000CBC4: 0ABD2D5E
	v_mul_f32_e32 v95, v95, v151                               // 00000000CBC8: 0ABF2F5F
	v_mul_f32_e64 v4, -v96, s6                                 // 00000000CBCC: D1050004 20000D60
	v_mul_f32_e64 v5, -v97, s6                                 // 00000000CBD4: D1050005 20000D61
	v_mul_f32_e64 v6, -v98, s6                                 // 00000000CBDC: D1050006 20000D62
	v_mul_f32_e64 v7, -v99, s6                                 // 00000000CBE4: D1050007 20000D63
	v_exp_f32_e32 v4, v4                                       // 00000000CBEC: 7E084104
	v_exp_f32_e32 v5, v5                                       // 00000000CBF0: 7E0A4105
	v_exp_f32_e32 v6, v6                                       // 00000000CBF4: 7E0C4106
	v_exp_f32_e32 v7, v7                                       // 00000000CBF8: 7E0E4107
	v_add_f32_e64 v4, v4, 1.0                                  // 00000000CBFC: D1010004 0001E504
	v_add_f32_e64 v5, v5, 1.0                                  // 00000000CC04: D1010005 0001E505
	v_add_f32_e64 v6, v6, 1.0                                  // 00000000CC0C: D1010006 0001E506
	v_add_f32_e64 v7, v7, 1.0                                  // 00000000CC14: D1010007 0001E507
	v_rcp_f32_e32 v4, v4                                       // 00000000CC1C: 7E084504
	v_rcp_f32_e32 v5, v5                                       // 00000000CC20: 7E0A4505
	v_rcp_f32_e32 v6, v6                                       // 00000000CC24: 7E0C4506
	v_rcp_f32_e32 v7, v7                                       // 00000000CC28: 7E0E4507
	v_mul_f32_e32 v96, v96, v4                                 // 00000000CC2C: 0AC00960
	v_mul_f32_e32 v97, v97, v5                                 // 00000000CC30: 0AC20B61
	v_mul_f32_e32 v98, v98, v6                                 // 00000000CC34: 0AC40D62
	v_mul_f32_e32 v99, v99, v7                                 // 00000000CC38: 0AC60F63
	v_mul_f32_e32 v96, v96, v152                               // 00000000CC3C: 0AC13160
	v_mul_f32_e32 v97, v97, v153                               // 00000000CC40: 0AC33361
	v_mul_f32_e32 v98, v98, v154                               // 00000000CC44: 0AC53562
	v_mul_f32_e32 v99, v99, v155                               // 00000000CC48: 0AC73763
	v_mul_f32_e64 v4, -v100, s6                                // 00000000CC4C: D1050004 20000D64
	v_mul_f32_e64 v5, -v101, s6                                // 00000000CC54: D1050005 20000D65
	v_mul_f32_e64 v6, -v102, s6                                // 00000000CC5C: D1050006 20000D66
	v_mul_f32_e64 v7, -v103, s6                                // 00000000CC64: D1050007 20000D67
	v_exp_f32_e32 v4, v4                                       // 00000000CC6C: 7E084104
	v_exp_f32_e32 v5, v5                                       // 00000000CC70: 7E0A4105
	v_exp_f32_e32 v6, v6                                       // 00000000CC74: 7E0C4106
	v_exp_f32_e32 v7, v7                                       // 00000000CC78: 7E0E4107
	v_add_f32_e64 v4, v4, 1.0                                  // 00000000CC7C: D1010004 0001E504
	v_add_f32_e64 v5, v5, 1.0                                  // 00000000CC84: D1010005 0001E505
	v_add_f32_e64 v6, v6, 1.0                                  // 00000000CC8C: D1010006 0001E506
	v_add_f32_e64 v7, v7, 1.0                                  // 00000000CC94: D1010007 0001E507
	v_rcp_f32_e32 v4, v4                                       // 00000000CC9C: 7E084504
	v_rcp_f32_e32 v5, v5                                       // 00000000CCA0: 7E0A4505
	v_rcp_f32_e32 v6, v6                                       // 00000000CCA4: 7E0C4506
	v_rcp_f32_e32 v7, v7                                       // 00000000CCA8: 7E0E4507
	v_mul_f32_e32 v100, v100, v4                               // 00000000CCAC: 0AC80964
	v_mul_f32_e32 v101, v101, v5                               // 00000000CCB0: 0ACA0B65
	v_mul_f32_e32 v102, v102, v6                               // 00000000CCB4: 0ACC0D66
	v_mul_f32_e32 v103, v103, v7                               // 00000000CCB8: 0ACE0F67
	v_mul_f32_e32 v100, v100, v156                             // 00000000CCBC: 0AC93964
	v_mul_f32_e32 v101, v101, v157                             // 00000000CCC0: 0ACB3B65
	v_mul_f32_e32 v102, v102, v158                             // 00000000CCC4: 0ACD3D66
	v_mul_f32_e32 v103, v103, v159                             // 00000000CCC8: 0ACF3F67
	v_mul_f32_e64 v4, -v104, s6                                // 00000000CCCC: D1050004 20000D68
	v_mul_f32_e64 v5, -v105, s6                                // 00000000CCD4: D1050005 20000D69
	v_mul_f32_e64 v6, -v106, s6                                // 00000000CCDC: D1050006 20000D6A
	v_mul_f32_e64 v7, -v107, s6                                // 00000000CCE4: D1050007 20000D6B
	v_exp_f32_e32 v4, v4                                       // 00000000CCEC: 7E084104
	v_exp_f32_e32 v5, v5                                       // 00000000CCF0: 7E0A4105
	v_exp_f32_e32 v6, v6                                       // 00000000CCF4: 7E0C4106
	v_exp_f32_e32 v7, v7                                       // 00000000CCF8: 7E0E4107
	v_add_f32_e64 v4, v4, 1.0                                  // 00000000CCFC: D1010004 0001E504
	v_add_f32_e64 v5, v5, 1.0                                  // 00000000CD04: D1010005 0001E505
	v_add_f32_e64 v6, v6, 1.0                                  // 00000000CD0C: D1010006 0001E506
	v_add_f32_e64 v7, v7, 1.0                                  // 00000000CD14: D1010007 0001E507
	v_rcp_f32_e32 v4, v4                                       // 00000000CD1C: 7E084504
	v_rcp_f32_e32 v5, v5                                       // 00000000CD20: 7E0A4505
	v_rcp_f32_e32 v6, v6                                       // 00000000CD24: 7E0C4506
	v_rcp_f32_e32 v7, v7                                       // 00000000CD28: 7E0E4507
	v_mul_f32_e32 v104, v104, v4                               // 00000000CD2C: 0AD00968
	v_mul_f32_e32 v105, v105, v5                               // 00000000CD30: 0AD20B69
	v_mul_f32_e32 v106, v106, v6                               // 00000000CD34: 0AD40D6A
	v_mul_f32_e32 v107, v107, v7                               // 00000000CD38: 0AD60F6B
	v_mul_f32_e32 v104, v104, v160                             // 00000000CD3C: 0AD14168
	v_mul_f32_e32 v105, v105, v161                             // 00000000CD40: 0AD34369
	v_mul_f32_e32 v106, v106, v162                             // 00000000CD44: 0AD5456A
	v_mul_f32_e32 v107, v107, v163                             // 00000000CD48: 0AD7476B
	v_mul_f32_e64 v4, -v108, s6                                // 00000000CD4C: D1050004 20000D6C
	v_mul_f32_e64 v5, -v109, s6                                // 00000000CD54: D1050005 20000D6D
	v_mul_f32_e64 v6, -v110, s6                                // 00000000CD5C: D1050006 20000D6E
	v_mul_f32_e64 v7, -v111, s6                                // 00000000CD64: D1050007 20000D6F
	v_exp_f32_e32 v4, v4                                       // 00000000CD6C: 7E084104
	v_exp_f32_e32 v5, v5                                       // 00000000CD70: 7E0A4105
	v_exp_f32_e32 v6, v6                                       // 00000000CD74: 7E0C4106
	v_exp_f32_e32 v7, v7                                       // 00000000CD78: 7E0E4107
	v_add_f32_e64 v4, v4, 1.0                                  // 00000000CD7C: D1010004 0001E504
	v_add_f32_e64 v5, v5, 1.0                                  // 00000000CD84: D1010005 0001E505
	v_add_f32_e64 v6, v6, 1.0                                  // 00000000CD8C: D1010006 0001E506
	v_add_f32_e64 v7, v7, 1.0                                  // 00000000CD94: D1010007 0001E507
	v_rcp_f32_e32 v4, v4                                       // 00000000CD9C: 7E084504
	v_rcp_f32_e32 v5, v5                                       // 00000000CDA0: 7E0A4505
	v_rcp_f32_e32 v6, v6                                       // 00000000CDA4: 7E0C4506
	v_rcp_f32_e32 v7, v7                                       // 00000000CDA8: 7E0E4507
	v_mul_f32_e32 v108, v108, v4                               // 00000000CDAC: 0AD8096C
	v_mul_f32_e32 v109, v109, v5                               // 00000000CDB0: 0ADA0B6D
	v_mul_f32_e32 v110, v110, v6                               // 00000000CDB4: 0ADC0D6E
	v_mul_f32_e32 v111, v111, v7                               // 00000000CDB8: 0ADE0F6F
	v_mul_f32_e32 v108, v108, v164                             // 00000000CDBC: 0AD9496C
	v_mul_f32_e32 v109, v109, v165                             // 00000000CDC0: 0ADB4B6D
	v_mul_f32_e32 v110, v110, v166                             // 00000000CDC4: 0ADD4D6E
	v_mul_f32_e32 v111, v111, v167                             // 00000000CDC8: 0ADF4F6F
	v_mul_f32_e64 v4, -v112, s6                                // 00000000CDCC: D1050004 20000D70
	v_mul_f32_e64 v5, -v113, s6                                // 00000000CDD4: D1050005 20000D71
	v_mul_f32_e64 v6, -v114, s6                                // 00000000CDDC: D1050006 20000D72
	v_mul_f32_e64 v7, -v115, s6                                // 00000000CDE4: D1050007 20000D73
	v_exp_f32_e32 v4, v4                                       // 00000000CDEC: 7E084104
	v_exp_f32_e32 v5, v5                                       // 00000000CDF0: 7E0A4105
	v_exp_f32_e32 v6, v6                                       // 00000000CDF4: 7E0C4106
	v_exp_f32_e32 v7, v7                                       // 00000000CDF8: 7E0E4107
	v_add_f32_e64 v4, v4, 1.0                                  // 00000000CDFC: D1010004 0001E504
	v_add_f32_e64 v5, v5, 1.0                                  // 00000000CE04: D1010005 0001E505
	v_add_f32_e64 v6, v6, 1.0                                  // 00000000CE0C: D1010006 0001E506
	v_add_f32_e64 v7, v7, 1.0                                  // 00000000CE14: D1010007 0001E507
	v_rcp_f32_e32 v4, v4                                       // 00000000CE1C: 7E084504
	v_rcp_f32_e32 v5, v5                                       // 00000000CE20: 7E0A4505
	v_rcp_f32_e32 v6, v6                                       // 00000000CE24: 7E0C4506
	v_rcp_f32_e32 v7, v7                                       // 00000000CE28: 7E0E4507
	v_mul_f32_e32 v112, v112, v4                               // 00000000CE2C: 0AE00970
	v_mul_f32_e32 v113, v113, v5                               // 00000000CE30: 0AE20B71
	v_mul_f32_e32 v114, v114, v6                               // 00000000CE34: 0AE40D72
	v_mul_f32_e32 v115, v115, v7                               // 00000000CE38: 0AE60F73
	v_mul_f32_e32 v112, v112, v168                             // 00000000CE3C: 0AE15170
	v_mul_f32_e32 v113, v113, v169                             // 00000000CE40: 0AE35371
	v_mul_f32_e32 v114, v114, v170                             // 00000000CE44: 0AE55572
	v_mul_f32_e32 v115, v115, v171                             // 00000000CE48: 0AE75773
	v_mul_f32_e64 v4, -v116, s6                                // 00000000CE4C: D1050004 20000D74
	v_mul_f32_e64 v5, -v117, s6                                // 00000000CE54: D1050005 20000D75
	v_mul_f32_e64 v6, -v118, s6                                // 00000000CE5C: D1050006 20000D76
	v_mul_f32_e64 v7, -v119, s6                                // 00000000CE64: D1050007 20000D77
	v_exp_f32_e32 v4, v4                                       // 00000000CE6C: 7E084104
	v_exp_f32_e32 v5, v5                                       // 00000000CE70: 7E0A4105
	v_exp_f32_e32 v6, v6                                       // 00000000CE74: 7E0C4106
	v_exp_f32_e32 v7, v7                                       // 00000000CE78: 7E0E4107
	v_add_f32_e64 v4, v4, 1.0                                  // 00000000CE7C: D1010004 0001E504
	v_add_f32_e64 v5, v5, 1.0                                  // 00000000CE84: D1010005 0001E505
	v_add_f32_e64 v6, v6, 1.0                                  // 00000000CE8C: D1010006 0001E506
	v_add_f32_e64 v7, v7, 1.0                                  // 00000000CE94: D1010007 0001E507
	v_rcp_f32_e32 v4, v4                                       // 00000000CE9C: 7E084504
	v_rcp_f32_e32 v5, v5                                       // 00000000CEA0: 7E0A4505
	v_rcp_f32_e32 v6, v6                                       // 00000000CEA4: 7E0C4506
	v_rcp_f32_e32 v7, v7                                       // 00000000CEA8: 7E0E4507
	v_mul_f32_e32 v116, v116, v4                               // 00000000CEAC: 0AE80974
	v_mul_f32_e32 v117, v117, v5                               // 00000000CEB0: 0AEA0B75
	v_mul_f32_e32 v118, v118, v6                               // 00000000CEB4: 0AEC0D76
	v_mul_f32_e32 v119, v119, v7                               // 00000000CEB8: 0AEE0F77
	v_mul_f32_e32 v116, v116, v172                             // 00000000CEBC: 0AE95974
	v_mul_f32_e32 v117, v117, v173                             // 00000000CEC0: 0AEB5B75
	v_mul_f32_e32 v118, v118, v174                             // 00000000CEC4: 0AED5D76
	v_mul_f32_e32 v119, v119, v175                             // 00000000CEC8: 0AEF5F77
	v_mul_f32_e64 v4, -v120, s6                                // 00000000CECC: D1050004 20000D78
	v_mul_f32_e64 v5, -v121, s6                                // 00000000CED4: D1050005 20000D79
	v_mul_f32_e64 v6, -v122, s6                                // 00000000CEDC: D1050006 20000D7A
	v_mul_f32_e64 v7, -v123, s6                                // 00000000CEE4: D1050007 20000D7B
	v_exp_f32_e32 v4, v4                                       // 00000000CEEC: 7E084104
	v_exp_f32_e32 v5, v5                                       // 00000000CEF0: 7E0A4105
	v_exp_f32_e32 v6, v6                                       // 00000000CEF4: 7E0C4106
	v_exp_f32_e32 v7, v7                                       // 00000000CEF8: 7E0E4107
	v_add_f32_e64 v4, v4, 1.0                                  // 00000000CEFC: D1010004 0001E504
	v_add_f32_e64 v5, v5, 1.0                                  // 00000000CF04: D1010005 0001E505
	v_add_f32_e64 v6, v6, 1.0                                  // 00000000CF0C: D1010006 0001E506
	v_add_f32_e64 v7, v7, 1.0                                  // 00000000CF14: D1010007 0001E507
	v_rcp_f32_e32 v4, v4                                       // 00000000CF1C: 7E084504
	v_rcp_f32_e32 v5, v5                                       // 00000000CF20: 7E0A4505
	v_rcp_f32_e32 v6, v6                                       // 00000000CF24: 7E0C4506
	v_rcp_f32_e32 v7, v7                                       // 00000000CF28: 7E0E4507
	v_mul_f32_e32 v120, v120, v4                               // 00000000CF2C: 0AF00978
	v_mul_f32_e32 v121, v121, v5                               // 00000000CF30: 0AF20B79
	v_mul_f32_e32 v122, v122, v6                               // 00000000CF34: 0AF40D7A
	v_mul_f32_e32 v123, v123, v7                               // 00000000CF38: 0AF60F7B
	v_mul_f32_e32 v120, v120, v176                             // 00000000CF3C: 0AF16178
	v_mul_f32_e32 v121, v121, v177                             // 00000000CF40: 0AF36379
	v_mul_f32_e32 v122, v122, v178                             // 00000000CF44: 0AF5657A
	v_mul_f32_e32 v123, v123, v179                             // 00000000CF48: 0AF7677B
	v_mul_f32_e64 v4, -v124, s6                                // 00000000CF4C: D1050004 20000D7C
	v_mul_f32_e64 v5, -v125, s6                                // 00000000CF54: D1050005 20000D7D
	v_mul_f32_e64 v6, -v126, s6                                // 00000000CF5C: D1050006 20000D7E
	v_mul_f32_e64 v7, -v127, s6                                // 00000000CF64: D1050007 20000D7F
	v_exp_f32_e32 v4, v4                                       // 00000000CF6C: 7E084104
	v_exp_f32_e32 v5, v5                                       // 00000000CF70: 7E0A4105
	v_exp_f32_e32 v6, v6                                       // 00000000CF74: 7E0C4106
	v_exp_f32_e32 v7, v7                                       // 00000000CF78: 7E0E4107
	v_add_f32_e64 v4, v4, 1.0                                  // 00000000CF7C: D1010004 0001E504
	v_add_f32_e64 v5, v5, 1.0                                  // 00000000CF84: D1010005 0001E505
	v_add_f32_e64 v6, v6, 1.0                                  // 00000000CF8C: D1010006 0001E506
	v_add_f32_e64 v7, v7, 1.0                                  // 00000000CF94: D1010007 0001E507
	v_rcp_f32_e32 v4, v4                                       // 00000000CF9C: 7E084504
	v_rcp_f32_e32 v5, v5                                       // 00000000CFA0: 7E0A4505
	v_rcp_f32_e32 v6, v6                                       // 00000000CFA4: 7E0C4506
	v_rcp_f32_e32 v7, v7                                       // 00000000CFA8: 7E0E4507
	v_mul_f32_e32 v124, v124, v4                               // 00000000CFAC: 0AF8097C
	v_mul_f32_e32 v125, v125, v5                               // 00000000CFB0: 0AFA0B7D
	v_mul_f32_e32 v126, v126, v6                               // 00000000CFB4: 0AFC0D7E
	v_mul_f32_e32 v127, v127, v7                               // 00000000CFB8: 0AFE0F7F
	v_mul_f32_e32 v124, v124, v180                             // 00000000CFBC: 0AF9697C
	v_mul_f32_e32 v125, v125, v181                             // 00000000CFC0: 0AFB6B7D
	v_mul_f32_e32 v126, v126, v182                             // 00000000CFC4: 0AFD6D7E
	v_mul_f32_e32 v127, v127, v183                             // 00000000CFC8: 0AFF6F7F
	v_mul_f32_e64 v4, -v128, s6                                // 00000000CFCC: D1050004 20000D80
	v_mul_f32_e64 v5, -v129, s6                                // 00000000CFD4: D1050005 20000D81
	v_mul_f32_e64 v6, -v130, s6                                // 00000000CFDC: D1050006 20000D82
	v_mul_f32_e64 v7, -v131, s6                                // 00000000CFE4: D1050007 20000D83
	v_exp_f32_e32 v4, v4                                       // 00000000CFEC: 7E084104
	v_exp_f32_e32 v5, v5                                       // 00000000CFF0: 7E0A4105
	v_exp_f32_e32 v6, v6                                       // 00000000CFF4: 7E0C4106
	v_exp_f32_e32 v7, v7                                       // 00000000CFF8: 7E0E4107
	v_add_f32_e64 v4, v4, 1.0                                  // 00000000CFFC: D1010004 0001E504
	v_add_f32_e64 v5, v5, 1.0                                  // 00000000D004: D1010005 0001E505
	v_add_f32_e64 v6, v6, 1.0                                  // 00000000D00C: D1010006 0001E506
	v_add_f32_e64 v7, v7, 1.0                                  // 00000000D014: D1010007 0001E507
	v_rcp_f32_e32 v4, v4                                       // 00000000D01C: 7E084504
	v_rcp_f32_e32 v5, v5                                       // 00000000D020: 7E0A4505
	v_rcp_f32_e32 v6, v6                                       // 00000000D024: 7E0C4506
	v_rcp_f32_e32 v7, v7                                       // 00000000D028: 7E0E4507
	v_mul_f32_e32 v128, v128, v4                               // 00000000D02C: 0B000980
	v_mul_f32_e32 v129, v129, v5                               // 00000000D030: 0B020B81
	v_mul_f32_e32 v130, v130, v6                               // 00000000D034: 0B040D82
	v_mul_f32_e32 v131, v131, v7                               // 00000000D038: 0B060F83
	v_mul_f32_e32 v128, v128, v184                             // 00000000D03C: 0B017180
	v_mul_f32_e32 v129, v129, v185                             // 00000000D040: 0B037381
	v_mul_f32_e32 v130, v130, v186                             // 00000000D044: 0B057582
	v_mul_f32_e32 v131, v131, v187                             // 00000000D048: 0B077783

000000000000d04c <label_2996>:
	v_cmp_u_f32_e64 s[46:47], v76, v76                         // 00000000D04C: D048002E 0002994C
	v_add3_u32 v16, v76, v19, 1                                // 00000000D054: D1FF0010 0206274C
	v_cndmask_b32_e64 v4, v16, v18, s[46:47]                   // 00000000D05C: D1000004 00BA2510
	v_cmp_u_f32_e64 s[46:47], v77, v77                         // 00000000D064: D048002E 00029B4D
	v_add3_u32 v16, v77, v19, 1                                // 00000000D06C: D1FF0010 0206274D
	v_cndmask_b32_e64 v5, v16, v18, s[46:47]                   // 00000000D074: D1000005 00BA2510
	v_perm_b32 v76, v5, v4, s52                                // 00000000D07C: D1ED004C 00D20905
	v_cmp_u_f32_e64 s[46:47], v78, v78                         // 00000000D084: D048002E 00029D4E
	v_add3_u32 v16, v78, v19, 1                                // 00000000D08C: D1FF0010 0206274E
	v_cndmask_b32_e64 v4, v16, v18, s[46:47]                   // 00000000D094: D1000004 00BA2510
	v_cmp_u_f32_e64 s[46:47], v79, v79                         // 00000000D09C: D048002E 00029F4F
	v_add3_u32 v16, v79, v19, 1                                // 00000000D0A4: D1FF0010 0206274F
	v_cndmask_b32_e64 v5, v16, v18, s[46:47]                   // 00000000D0AC: D1000005 00BA2510
	v_perm_b32 v77, v5, v4, s52                                // 00000000D0B4: D1ED004D 00D20905
	v_cmp_u_f32_e64 s[46:47], v80, v80                         // 00000000D0BC: D048002E 0002A150
	v_add3_u32 v16, v80, v19, 1                                // 00000000D0C4: D1FF0010 02062750
	v_cndmask_b32_e64 v4, v16, v18, s[46:47]                   // 00000000D0CC: D1000004 00BA2510
	v_cmp_u_f32_e64 s[46:47], v81, v81                         // 00000000D0D4: D048002E 0002A351
	v_add3_u32 v16, v81, v19, 1                                // 00000000D0DC: D1FF0010 02062751
	v_cndmask_b32_e64 v5, v16, v18, s[46:47]                   // 00000000D0E4: D1000005 00BA2510
	v_perm_b32 v78, v5, v4, s52                                // 00000000D0EC: D1ED004E 00D20905
	v_cmp_u_f32_e64 s[46:47], v82, v82                         // 00000000D0F4: D048002E 0002A552
	v_add3_u32 v16, v82, v19, 1                                // 00000000D0FC: D1FF0010 02062752
	v_cndmask_b32_e64 v4, v16, v18, s[46:47]                   // 00000000D104: D1000004 00BA2510
	v_cmp_u_f32_e64 s[46:47], v83, v83                         // 00000000D10C: D048002E 0002A753
	v_add3_u32 v16, v83, v19, 1                                // 00000000D114: D1FF0010 02062753
	v_cndmask_b32_e64 v5, v16, v18, s[46:47]                   // 00000000D11C: D1000005 00BA2510
	v_perm_b32 v79, v5, v4, s52                                // 00000000D124: D1ED004F 00D20905
	v_cmp_u_f32_e64 s[46:47], v84, v84                         // 00000000D12C: D048002E 0002A954
	v_add3_u32 v16, v84, v19, 1                                // 00000000D134: D1FF0010 02062754
	v_cndmask_b32_e64 v4, v16, v18, s[46:47]                   // 00000000D13C: D1000004 00BA2510
	v_cmp_u_f32_e64 s[46:47], v85, v85                         // 00000000D144: D048002E 0002AB55
	v_add3_u32 v16, v85, v19, 1                                // 00000000D14C: D1FF0010 02062755
	v_cndmask_b32_e64 v5, v16, v18, s[46:47]                   // 00000000D154: D1000005 00BA2510
	v_perm_b32 v80, v5, v4, s52                                // 00000000D15C: D1ED0050 00D20905
	v_cmp_u_f32_e64 s[46:47], v86, v86                         // 00000000D164: D048002E 0002AD56
	v_add3_u32 v16, v86, v19, 1                                // 00000000D16C: D1FF0010 02062756
	v_cndmask_b32_e64 v4, v16, v18, s[46:47]                   // 00000000D174: D1000004 00BA2510
	v_cmp_u_f32_e64 s[46:47], v87, v87                         // 00000000D17C: D048002E 0002AF57
	v_add3_u32 v16, v87, v19, 1                                // 00000000D184: D1FF0010 02062757
	v_cndmask_b32_e64 v5, v16, v18, s[46:47]                   // 00000000D18C: D1000005 00BA2510
	v_perm_b32 v81, v5, v4, s52                                // 00000000D194: D1ED0051 00D20905
	v_cmp_u_f32_e64 s[46:47], v88, v88                         // 00000000D19C: D048002E 0002B158
	v_add3_u32 v16, v88, v19, 1                                // 00000000D1A4: D1FF0010 02062758
	v_cndmask_b32_e64 v4, v16, v18, s[46:47]                   // 00000000D1AC: D1000004 00BA2510
	v_cmp_u_f32_e64 s[46:47], v89, v89                         // 00000000D1B4: D048002E 0002B359
	v_add3_u32 v16, v89, v19, 1                                // 00000000D1BC: D1FF0010 02062759
	v_cndmask_b32_e64 v5, v16, v18, s[46:47]                   // 00000000D1C4: D1000005 00BA2510
	v_perm_b32 v82, v5, v4, s52                                // 00000000D1CC: D1ED0052 00D20905
	v_cmp_u_f32_e64 s[46:47], v90, v90                         // 00000000D1D4: D048002E 0002B55A
	v_add3_u32 v16, v90, v19, 1                                // 00000000D1DC: D1FF0010 0206275A
	v_cndmask_b32_e64 v4, v16, v18, s[46:47]                   // 00000000D1E4: D1000004 00BA2510
	v_cmp_u_f32_e64 s[46:47], v91, v91                         // 00000000D1EC: D048002E 0002B75B
	v_add3_u32 v16, v91, v19, 1                                // 00000000D1F4: D1FF0010 0206275B
	v_cndmask_b32_e64 v5, v16, v18, s[46:47]                   // 00000000D1FC: D1000005 00BA2510
	v_perm_b32 v83, v5, v4, s52                                // 00000000D204: D1ED0053 00D20905
	v_cmp_u_f32_e64 s[46:47], v92, v92                         // 00000000D20C: D048002E 0002B95C
	v_add3_u32 v16, v92, v19, 1                                // 00000000D214: D1FF0010 0206275C
	v_cndmask_b32_e64 v4, v16, v18, s[46:47]                   // 00000000D21C: D1000004 00BA2510
	v_cmp_u_f32_e64 s[46:47], v93, v93                         // 00000000D224: D048002E 0002BB5D
	v_add3_u32 v16, v93, v19, 1                                // 00000000D22C: D1FF0010 0206275D
	v_cndmask_b32_e64 v5, v16, v18, s[46:47]                   // 00000000D234: D1000005 00BA2510
	v_perm_b32 v84, v5, v4, s52                                // 00000000D23C: D1ED0054 00D20905
	v_cmp_u_f32_e64 s[46:47], v94, v94                         // 00000000D244: D048002E 0002BD5E
	v_add3_u32 v16, v94, v19, 1                                // 00000000D24C: D1FF0010 0206275E
	v_cndmask_b32_e64 v4, v16, v18, s[46:47]                   // 00000000D254: D1000004 00BA2510
	v_cmp_u_f32_e64 s[46:47], v95, v95                         // 00000000D25C: D048002E 0002BF5F
	v_add3_u32 v16, v95, v19, 1                                // 00000000D264: D1FF0010 0206275F
	v_cndmask_b32_e64 v5, v16, v18, s[46:47]                   // 00000000D26C: D1000005 00BA2510
	v_perm_b32 v85, v5, v4, s52                                // 00000000D274: D1ED0055 00D20905
	v_cmp_u_f32_e64 s[46:47], v96, v96                         // 00000000D27C: D048002E 0002C160
	v_add3_u32 v16, v96, v19, 1                                // 00000000D284: D1FF0010 02062760
	v_cndmask_b32_e64 v4, v16, v18, s[46:47]                   // 00000000D28C: D1000004 00BA2510
	v_cmp_u_f32_e64 s[46:47], v97, v97                         // 00000000D294: D048002E 0002C361
	v_add3_u32 v16, v97, v19, 1                                // 00000000D29C: D1FF0010 02062761
	v_cndmask_b32_e64 v5, v16, v18, s[46:47]                   // 00000000D2A4: D1000005 00BA2510
	v_perm_b32 v86, v5, v4, s52                                // 00000000D2AC: D1ED0056 00D20905
	v_cmp_u_f32_e64 s[46:47], v98, v98                         // 00000000D2B4: D048002E 0002C562
	v_add3_u32 v16, v98, v19, 1                                // 00000000D2BC: D1FF0010 02062762
	v_cndmask_b32_e64 v4, v16, v18, s[46:47]                   // 00000000D2C4: D1000004 00BA2510
	v_cmp_u_f32_e64 s[46:47], v99, v99                         // 00000000D2CC: D048002E 0002C763
	v_add3_u32 v16, v99, v19, 1                                // 00000000D2D4: D1FF0010 02062763
	v_cndmask_b32_e64 v5, v16, v18, s[46:47]                   // 00000000D2DC: D1000005 00BA2510
	v_perm_b32 v87, v5, v4, s52                                // 00000000D2E4: D1ED0057 00D20905
	v_cmp_u_f32_e64 s[46:47], v100, v100                       // 00000000D2EC: D048002E 0002C964
	v_add3_u32 v16, v100, v19, 1                               // 00000000D2F4: D1FF0010 02062764
	v_cndmask_b32_e64 v4, v16, v18, s[46:47]                   // 00000000D2FC: D1000004 00BA2510
	v_cmp_u_f32_e64 s[46:47], v101, v101                       // 00000000D304: D048002E 0002CB65
	v_add3_u32 v16, v101, v19, 1                               // 00000000D30C: D1FF0010 02062765
	v_cndmask_b32_e64 v5, v16, v18, s[46:47]                   // 00000000D314: D1000005 00BA2510
	v_perm_b32 v88, v5, v4, s52                                // 00000000D31C: D1ED0058 00D20905
	v_cmp_u_f32_e64 s[46:47], v102, v102                       // 00000000D324: D048002E 0002CD66
	v_add3_u32 v16, v102, v19, 1                               // 00000000D32C: D1FF0010 02062766
	v_cndmask_b32_e64 v4, v16, v18, s[46:47]                   // 00000000D334: D1000004 00BA2510
	v_cmp_u_f32_e64 s[46:47], v103, v103                       // 00000000D33C: D048002E 0002CF67
	v_add3_u32 v16, v103, v19, 1                               // 00000000D344: D1FF0010 02062767
	v_cndmask_b32_e64 v5, v16, v18, s[46:47]                   // 00000000D34C: D1000005 00BA2510
	v_perm_b32 v89, v5, v4, s52                                // 00000000D354: D1ED0059 00D20905
	v_cmp_u_f32_e64 s[46:47], v104, v104                       // 00000000D35C: D048002E 0002D168
	v_add3_u32 v16, v104, v19, 1                               // 00000000D364: D1FF0010 02062768
	v_cndmask_b32_e64 v4, v16, v18, s[46:47]                   // 00000000D36C: D1000004 00BA2510
	v_cmp_u_f32_e64 s[46:47], v105, v105                       // 00000000D374: D048002E 0002D369
	v_add3_u32 v16, v105, v19, 1                               // 00000000D37C: D1FF0010 02062769
	v_cndmask_b32_e64 v5, v16, v18, s[46:47]                   // 00000000D384: D1000005 00BA2510
	v_perm_b32 v90, v5, v4, s52                                // 00000000D38C: D1ED005A 00D20905
	v_cmp_u_f32_e64 s[46:47], v106, v106                       // 00000000D394: D048002E 0002D56A
	v_add3_u32 v16, v106, v19, 1                               // 00000000D39C: D1FF0010 0206276A
	v_cndmask_b32_e64 v4, v16, v18, s[46:47]                   // 00000000D3A4: D1000004 00BA2510
	v_cmp_u_f32_e64 s[46:47], v107, v107                       // 00000000D3AC: D048002E 0002D76B
	v_add3_u32 v16, v107, v19, 1                               // 00000000D3B4: D1FF0010 0206276B
	v_cndmask_b32_e64 v5, v16, v18, s[46:47]                   // 00000000D3BC: D1000005 00BA2510
	v_perm_b32 v91, v5, v4, s52                                // 00000000D3C4: D1ED005B 00D20905
	v_cmp_u_f32_e64 s[46:47], v108, v108                       // 00000000D3CC: D048002E 0002D96C
	v_add3_u32 v16, v108, v19, 1                               // 00000000D3D4: D1FF0010 0206276C
	v_cndmask_b32_e64 v4, v16, v18, s[46:47]                   // 00000000D3DC: D1000004 00BA2510
	v_cmp_u_f32_e64 s[46:47], v109, v109                       // 00000000D3E4: D048002E 0002DB6D
	v_add3_u32 v16, v109, v19, 1                               // 00000000D3EC: D1FF0010 0206276D
	v_cndmask_b32_e64 v5, v16, v18, s[46:47]                   // 00000000D3F4: D1000005 00BA2510
	v_perm_b32 v92, v5, v4, s52                                // 00000000D3FC: D1ED005C 00D20905
	v_cmp_u_f32_e64 s[46:47], v110, v110                       // 00000000D404: D048002E 0002DD6E
	v_add3_u32 v16, v110, v19, 1                               // 00000000D40C: D1FF0010 0206276E
	v_cndmask_b32_e64 v4, v16, v18, s[46:47]                   // 00000000D414: D1000004 00BA2510
	v_cmp_u_f32_e64 s[46:47], v111, v111                       // 00000000D41C: D048002E 0002DF6F
	v_add3_u32 v16, v111, v19, 1                               // 00000000D424: D1FF0010 0206276F
	v_cndmask_b32_e64 v5, v16, v18, s[46:47]                   // 00000000D42C: D1000005 00BA2510
	v_perm_b32 v93, v5, v4, s52                                // 00000000D434: D1ED005D 00D20905
	v_cmp_u_f32_e64 s[46:47], v112, v112                       // 00000000D43C: D048002E 0002E170
	v_add3_u32 v16, v112, v19, 1                               // 00000000D444: D1FF0010 02062770
	v_cndmask_b32_e64 v4, v16, v18, s[46:47]                   // 00000000D44C: D1000004 00BA2510
	v_cmp_u_f32_e64 s[46:47], v113, v113                       // 00000000D454: D048002E 0002E371
	v_add3_u32 v16, v113, v19, 1                               // 00000000D45C: D1FF0010 02062771
	v_cndmask_b32_e64 v5, v16, v18, s[46:47]                   // 00000000D464: D1000005 00BA2510
	v_perm_b32 v94, v5, v4, s52                                // 00000000D46C: D1ED005E 00D20905
	v_cmp_u_f32_e64 s[46:47], v114, v114                       // 00000000D474: D048002E 0002E572
	v_add3_u32 v16, v114, v19, 1                               // 00000000D47C: D1FF0010 02062772
	v_cndmask_b32_e64 v4, v16, v18, s[46:47]                   // 00000000D484: D1000004 00BA2510
	v_cmp_u_f32_e64 s[46:47], v115, v115                       // 00000000D48C: D048002E 0002E773
	v_add3_u32 v16, v115, v19, 1                               // 00000000D494: D1FF0010 02062773
	v_cndmask_b32_e64 v5, v16, v18, s[46:47]                   // 00000000D49C: D1000005 00BA2510
	v_perm_b32 v95, v5, v4, s52                                // 00000000D4A4: D1ED005F 00D20905
	v_cmp_u_f32_e64 s[46:47], v116, v116                       // 00000000D4AC: D048002E 0002E974
	v_add3_u32 v16, v116, v19, 1                               // 00000000D4B4: D1FF0010 02062774
	v_cndmask_b32_e64 v4, v16, v18, s[46:47]                   // 00000000D4BC: D1000004 00BA2510
	v_cmp_u_f32_e64 s[46:47], v117, v117                       // 00000000D4C4: D048002E 0002EB75
	v_add3_u32 v16, v117, v19, 1                               // 00000000D4CC: D1FF0010 02062775
	v_cndmask_b32_e64 v5, v16, v18, s[46:47]                   // 00000000D4D4: D1000005 00BA2510
	v_perm_b32 v96, v5, v4, s52                                // 00000000D4DC: D1ED0060 00D20905
	v_cmp_u_f32_e64 s[46:47], v118, v118                       // 00000000D4E4: D048002E 0002ED76
	v_add3_u32 v16, v118, v19, 1                               // 00000000D4EC: D1FF0010 02062776
	v_cndmask_b32_e64 v4, v16, v18, s[46:47]                   // 00000000D4F4: D1000004 00BA2510
	v_cmp_u_f32_e64 s[46:47], v119, v119                       // 00000000D4FC: D048002E 0002EF77
	v_add3_u32 v16, v119, v19, 1                               // 00000000D504: D1FF0010 02062777
	v_cndmask_b32_e64 v5, v16, v18, s[46:47]                   // 00000000D50C: D1000005 00BA2510
	v_perm_b32 v97, v5, v4, s52                                // 00000000D514: D1ED0061 00D20905
	v_cmp_u_f32_e64 s[46:47], v120, v120                       // 00000000D51C: D048002E 0002F178
	v_add3_u32 v16, v120, v19, 1                               // 00000000D524: D1FF0010 02062778
	v_cndmask_b32_e64 v4, v16, v18, s[46:47]                   // 00000000D52C: D1000004 00BA2510
	v_cmp_u_f32_e64 s[46:47], v121, v121                       // 00000000D534: D048002E 0002F379
	v_add3_u32 v16, v121, v19, 1                               // 00000000D53C: D1FF0010 02062779
	v_cndmask_b32_e64 v5, v16, v18, s[46:47]                   // 00000000D544: D1000005 00BA2510
	v_perm_b32 v98, v5, v4, s52                                // 00000000D54C: D1ED0062 00D20905
	v_cmp_u_f32_e64 s[46:47], v122, v122                       // 00000000D554: D048002E 0002F57A
	v_add3_u32 v16, v122, v19, 1                               // 00000000D55C: D1FF0010 0206277A
	v_cndmask_b32_e64 v4, v16, v18, s[46:47]                   // 00000000D564: D1000004 00BA2510
	v_cmp_u_f32_e64 s[46:47], v123, v123                       // 00000000D56C: D048002E 0002F77B
	v_add3_u32 v16, v123, v19, 1                               // 00000000D574: D1FF0010 0206277B
	v_cndmask_b32_e64 v5, v16, v18, s[46:47]                   // 00000000D57C: D1000005 00BA2510
	v_perm_b32 v99, v5, v4, s52                                // 00000000D584: D1ED0063 00D20905
	v_cmp_u_f32_e64 s[46:47], v124, v124                       // 00000000D58C: D048002E 0002F97C
	v_add3_u32 v16, v124, v19, 1                               // 00000000D594: D1FF0010 0206277C
	v_cndmask_b32_e64 v4, v16, v18, s[46:47]                   // 00000000D59C: D1000004 00BA2510
	v_cmp_u_f32_e64 s[46:47], v125, v125                       // 00000000D5A4: D048002E 0002FB7D
	v_add3_u32 v16, v125, v19, 1                               // 00000000D5AC: D1FF0010 0206277D
	v_cndmask_b32_e64 v5, v16, v18, s[46:47]                   // 00000000D5B4: D1000005 00BA2510
	v_perm_b32 v100, v5, v4, s52                               // 00000000D5BC: D1ED0064 00D20905
	v_cmp_u_f32_e64 s[46:47], v126, v126                       // 00000000D5C4: D048002E 0002FD7E
	v_add3_u32 v16, v126, v19, 1                               // 00000000D5CC: D1FF0010 0206277E
	v_cndmask_b32_e64 v4, v16, v18, s[46:47]                   // 00000000D5D4: D1000004 00BA2510
	v_cmp_u_f32_e64 s[46:47], v127, v127                       // 00000000D5DC: D048002E 0002FF7F
	v_add3_u32 v16, v127, v19, 1                               // 00000000D5E4: D1FF0010 0206277F
	v_cndmask_b32_e64 v5, v16, v18, s[46:47]                   // 00000000D5EC: D1000005 00BA2510
	v_perm_b32 v101, v5, v4, s52                               // 00000000D5F4: D1ED0065 00D20905
	v_cmp_u_f32_e64 s[46:47], v128, v128                       // 00000000D5FC: D048002E 00030180
	v_add3_u32 v16, v128, v19, 1                               // 00000000D604: D1FF0010 02062780
	v_cndmask_b32_e64 v4, v16, v18, s[46:47]                   // 00000000D60C: D1000004 00BA2510
	v_cmp_u_f32_e64 s[46:47], v129, v129                       // 00000000D614: D048002E 00030381
	v_add3_u32 v16, v129, v19, 1                               // 00000000D61C: D1FF0010 02062781
	v_cndmask_b32_e64 v5, v16, v18, s[46:47]                   // 00000000D624: D1000005 00BA2510
	v_perm_b32 v102, v5, v4, s52                               // 00000000D62C: D1ED0066 00D20905
	v_cmp_u_f32_e64 s[46:47], v130, v130                       // 00000000D634: D048002E 00030582
	v_add3_u32 v16, v130, v19, 1                               // 00000000D63C: D1FF0010 02062782
	v_cndmask_b32_e64 v4, v16, v18, s[46:47]                   // 00000000D644: D1000004 00BA2510
	v_cmp_u_f32_e64 s[46:47], v131, v131                       // 00000000D64C: D048002E 00030783
	v_add3_u32 v16, v131, v19, 1                               // 00000000D654: D1FF0010 02062783
	v_cndmask_b32_e64 v5, v16, v18, s[46:47]                   // 00000000D65C: D1000005 00BA2510
	v_perm_b32 v103, v5, v4, s52                               // 00000000D664: D1ED0067 00D20905
	ds_write_b64 v20, v[76:77]                                 // 00000000D66C: D89A0000 00004C14
	ds_write_b64 v20, v[78:79] offset:4352                     // 00000000D674: D89A1100 00004E14
	ds_write_b64 v20, v[80:81] offset:8704                     // 00000000D67C: D89A2200 00005014
	ds_write_b64 v20, v[82:83] offset:13056                    // 00000000D684: D89A3300 00005214
	ds_write_b64 v20, v[84:85] offset:17408                    // 00000000D68C: D89A4400 00005414
	ds_write_b64 v20, v[86:87] offset:21760                    // 00000000D694: D89A5500 00005614
	ds_write_b64 v20, v[88:89] offset:26112                    // 00000000D69C: D89A6600 00005814
	ds_write_b64 v20, v[90:91] offset:2176                     // 00000000D6A4: D89A0880 00005A14
	ds_write_b64 v20, v[92:93] offset:6528                     // 00000000D6AC: D89A1980 00005C14
	ds_write_b64 v20, v[94:95] offset:10880                    // 00000000D6B4: D89A2A80 00005E14
	ds_write_b64 v20, v[96:97] offset:15232                    // 00000000D6BC: D89A3B80 00006014
	ds_write_b64 v20, v[98:99] offset:19584                    // 00000000D6C4: D89A4C80 00006214
	ds_write_b64 v20, v[100:101] offset:23936                  // 00000000D6CC: D89A5D80 00006414
	ds_write_b64 v20, v[102:103] offset:28288                  // 00000000D6D4: D89A6E80 00006614
	v_lshrrev_b32_e32 v4, 5, v0                                // 00000000D6DC: 20080085
	v_xor_b32_e32 v5, 1, v4                                    // 00000000D6E0: 2A0A0881
	s_mul_i32 s60, s65, 2                                      // 00000000D6E4: 923C8241
	s_cmp_eq_u32 s88, 0                                        // 00000000D6E8: BF068058
	s_cselect_b32 s61, 1, 4                                    // 00000000D6EC: 853D8481
	s_mul_i32 s60, s61, s60                                    // 00000000D6F0: 923C3C3D
	v_readlane_b32 s82, v3, 0                                  // 00000000D6F4: D2890052 00010103
	s_lshr_b32 s61, s82, 24                                    // 00000000D6FC: 8F3D9852
	s_and_b32 s82, s82, 0xffffff                               // 00000000D700: 8652FF52 00FFFFFF
	s_mul_i32 s82, s82, s71                                    // 00000000D708: 92524752
	s_mul_i32 s61, s60, s61                                    // 00000000D70C: 923D3D3C
	s_add_u32 s82, s82, s61                                    // 00000000D710: 80523D52
	v_mul_lo_u32 v6, v5, s82                                   // 00000000D714: D2850006 0000A505
	v_readlane_b32 s82, v3, 1                                  // 00000000D71C: D2890052 00010303
	s_lshr_b32 s61, s82, 24                                    // 00000000D724: 8F3D9852
	s_and_b32 s82, s82, 0xffffff                               // 00000000D728: 8652FF52 00FFFFFF
	s_mul_i32 s82, s82, s71                                    // 00000000D730: 92524752
	s_mul_i32 s61, s60, s61                                    // 00000000D734: 923D3D3C
	s_add_u32 s82, s82, s61                                    // 00000000D738: 80523D52
	v_mul_lo_u32 v7, v4, s82                                   // 00000000D73C: D2850007 0000A504
	v_add_u32_e32 v58, v6, v7                                  // 00000000D744: 68740F06
	v_readlane_b32 s82, v3, 2                                  // 00000000D748: D2890052 00010503
	s_lshr_b32 s61, s82, 24                                    // 00000000D750: 8F3D9852
	s_and_b32 s82, s82, 0xffffff                               // 00000000D754: 8652FF52 00FFFFFF
	s_mul_i32 s82, s82, s71                                    // 00000000D75C: 92524752
	s_mul_i32 s61, s60, s61                                    // 00000000D760: 923D3D3C
	s_add_u32 s82, s82, s61                                    // 00000000D764: 80523D52
	v_mul_lo_u32 v6, v5, s82                                   // 00000000D768: D2850006 0000A505
	v_readlane_b32 s82, v3, 3                                  // 00000000D770: D2890052 00010703
	s_lshr_b32 s61, s82, 24                                    // 00000000D778: 8F3D9852
	s_and_b32 s82, s82, 0xffffff                               // 00000000D77C: 8652FF52 00FFFFFF
	s_mul_i32 s82, s82, s71                                    // 00000000D784: 92524752
	s_mul_i32 s61, s60, s61                                    // 00000000D788: 923D3D3C
	s_add_u32 s82, s82, s61                                    // 00000000D78C: 80523D52
	v_mul_lo_u32 v7, v4, s82                                   // 00000000D790: D2850007 0000A504
	v_add_u32_e32 v59, v6, v7                                  // 00000000D798: 68760F06
	v_readlane_b32 s82, v3, 4                                  // 00000000D79C: D2890052 00010903
	s_lshr_b32 s61, s82, 24                                    // 00000000D7A4: 8F3D9852
	s_and_b32 s82, s82, 0xffffff                               // 00000000D7A8: 8652FF52 00FFFFFF
	s_mul_i32 s82, s82, s71                                    // 00000000D7B0: 92524752
	s_mul_i32 s61, s60, s61                                    // 00000000D7B4: 923D3D3C
	s_add_u32 s82, s82, s61                                    // 00000000D7B8: 80523D52
	v_mul_lo_u32 v6, v5, s82                                   // 00000000D7BC: D2850006 0000A505
	v_readlane_b32 s82, v3, 5                                  // 00000000D7C4: D2890052 00010B03
	s_lshr_b32 s61, s82, 24                                    // 00000000D7CC: 8F3D9852
	s_and_b32 s82, s82, 0xffffff                               // 00000000D7D0: 8652FF52 00FFFFFF
	s_mul_i32 s82, s82, s71                                    // 00000000D7D8: 92524752
	s_mul_i32 s61, s60, s61                                    // 00000000D7DC: 923D3D3C
	s_add_u32 s82, s82, s61                                    // 00000000D7E0: 80523D52
	v_mul_lo_u32 v7, v4, s82                                   // 00000000D7E4: D2850007 0000A504
	v_add_u32_e32 v60, v6, v7                                  // 00000000D7EC: 68780F06
	v_readlane_b32 s82, v3, 6                                  // 00000000D7F0: D2890052 00010D03
	s_lshr_b32 s61, s82, 24                                    // 00000000D7F8: 8F3D9852
	s_and_b32 s82, s82, 0xffffff                               // 00000000D7FC: 8652FF52 00FFFFFF
	s_mul_i32 s82, s82, s71                                    // 00000000D804: 92524752
	s_mul_i32 s61, s60, s61                                    // 00000000D808: 923D3D3C
	s_add_u32 s82, s82, s61                                    // 00000000D80C: 80523D52
	v_mul_lo_u32 v6, v5, s82                                   // 00000000D810: D2850006 0000A505
	v_readlane_b32 s82, v3, 7                                  // 00000000D818: D2890052 00010F03
	s_lshr_b32 s61, s82, 24                                    // 00000000D820: 8F3D9852
	s_and_b32 s82, s82, 0xffffff                               // 00000000D824: 8652FF52 00FFFFFF
	s_mul_i32 s82, s82, s71                                    // 00000000D82C: 92524752
	s_mul_i32 s61, s60, s61                                    // 00000000D830: 923D3D3C
	s_add_u32 s82, s82, s61                                    // 00000000D834: 80523D52
	v_mul_lo_u32 v7, v4, s82                                   // 00000000D838: D2850007 0000A504
	v_add_u32_e32 v61, v6, v7                                  // 00000000D840: 687A0F06
	v_readlane_b32 s82, v3, 8                                  // 00000000D844: D2890052 00011103
	s_lshr_b32 s61, s82, 24                                    // 00000000D84C: 8F3D9852
	s_and_b32 s82, s82, 0xffffff                               // 00000000D850: 8652FF52 00FFFFFF
	s_mul_i32 s82, s82, s71                                    // 00000000D858: 92524752
	s_mul_i32 s61, s60, s61                                    // 00000000D85C: 923D3D3C
	s_add_u32 s82, s82, s61                                    // 00000000D860: 80523D52
	v_mul_lo_u32 v6, v5, s82                                   // 00000000D864: D2850006 0000A505
	v_readlane_b32 s82, v3, 9                                  // 00000000D86C: D2890052 00011303
	s_lshr_b32 s61, s82, 24                                    // 00000000D874: 8F3D9852
	s_and_b32 s82, s82, 0xffffff                               // 00000000D878: 8652FF52 00FFFFFF
	s_mul_i32 s82, s82, s71                                    // 00000000D880: 92524752
	s_mul_i32 s61, s60, s61                                    // 00000000D884: 923D3D3C
	s_add_u32 s82, s82, s61                                    // 00000000D888: 80523D52
	v_mul_lo_u32 v7, v4, s82                                   // 00000000D88C: D2850007 0000A504
	v_add_u32_e32 v62, v6, v7                                  // 00000000D894: 687C0F06
	v_readlane_b32 s82, v3, 10                                 // 00000000D898: D2890052 00011503
	s_lshr_b32 s61, s82, 24                                    // 00000000D8A0: 8F3D9852
	s_and_b32 s82, s82, 0xffffff                               // 00000000D8A4: 8652FF52 00FFFFFF
	s_mul_i32 s82, s82, s71                                    // 00000000D8AC: 92524752
	s_mul_i32 s61, s60, s61                                    // 00000000D8B0: 923D3D3C
	s_add_u32 s82, s82, s61                                    // 00000000D8B4: 80523D52
	v_mul_lo_u32 v6, v5, s82                                   // 00000000D8B8: D2850006 0000A505
	v_readlane_b32 s82, v3, 11                                 // 00000000D8C0: D2890052 00011703
	s_lshr_b32 s61, s82, 24                                    // 00000000D8C8: 8F3D9852
	s_and_b32 s82, s82, 0xffffff                               // 00000000D8CC: 8652FF52 00FFFFFF
	s_mul_i32 s82, s82, s71                                    // 00000000D8D4: 92524752
	s_mul_i32 s61, s60, s61                                    // 00000000D8D8: 923D3D3C
	s_add_u32 s82, s82, s61                                    // 00000000D8DC: 80523D52
	v_mul_lo_u32 v7, v4, s82                                   // 00000000D8E0: D2850007 0000A504
	v_add_u32_e32 v63, v6, v7                                  // 00000000D8E8: 687E0F06
	v_readlane_b32 s82, v3, 12                                 // 00000000D8EC: D2890052 00011903
	s_lshr_b32 s61, s82, 24                                    // 00000000D8F4: 8F3D9852
	s_and_b32 s82, s82, 0xffffff                               // 00000000D8F8: 8652FF52 00FFFFFF
	s_mul_i32 s82, s82, s71                                    // 00000000D900: 92524752
	s_mul_i32 s61, s60, s61                                    // 00000000D904: 923D3D3C
	s_add_u32 s82, s82, s61                                    // 00000000D908: 80523D52
	v_mul_lo_u32 v6, v5, s82                                   // 00000000D90C: D2850006 0000A505
	v_readlane_b32 s82, v3, 13                                 // 00000000D914: D2890052 00011B03
	s_lshr_b32 s61, s82, 24                                    // 00000000D91C: 8F3D9852
	s_and_b32 s82, s82, 0xffffff                               // 00000000D920: 8652FF52 00FFFFFF
	s_mul_i32 s82, s82, s71                                    // 00000000D928: 92524752
	s_mul_i32 s61, s60, s61                                    // 00000000D92C: 923D3D3C
	s_add_u32 s82, s82, s61                                    // 00000000D930: 80523D52
	v_mul_lo_u32 v7, v4, s82                                   // 00000000D934: D2850007 0000A504
	v_add_u32_e32 v64, v6, v7                                  // 00000000D93C: 68800F06
	v_readlane_b32 s82, v3, 14                                 // 00000000D940: D2890052 00011D03
	s_lshr_b32 s61, s82, 24                                    // 00000000D948: 8F3D9852
	s_and_b32 s82, s82, 0xffffff                               // 00000000D94C: 8652FF52 00FFFFFF
	s_mul_i32 s82, s82, s71                                    // 00000000D954: 92524752
	s_mul_i32 s61, s60, s61                                    // 00000000D958: 923D3D3C
	s_add_u32 s82, s82, s61                                    // 00000000D95C: 80523D52
	v_mul_lo_u32 v6, v5, s82                                   // 00000000D960: D2850006 0000A505
	v_readlane_b32 s82, v3, 15                                 // 00000000D968: D2890052 00011F03
	s_lshr_b32 s61, s82, 24                                    // 00000000D970: 8F3D9852
	s_and_b32 s82, s82, 0xffffff                               // 00000000D974: 8652FF52 00FFFFFF
	s_mul_i32 s82, s82, s71                                    // 00000000D97C: 92524752
	s_mul_i32 s61, s60, s61                                    // 00000000D980: 923D3D3C
	s_add_u32 s82, s82, s61                                    // 00000000D984: 80523D52
	v_mul_lo_u32 v7, v4, s82                                   // 00000000D988: D2850007 0000A504
	v_add_u32_e32 v65, v6, v7                                  // 00000000D990: 68820F06
	v_readlane_b32 s82, v3, 16                                 // 00000000D994: D2890052 00012103
	s_lshr_b32 s61, s82, 24                                    // 00000000D99C: 8F3D9852
	s_and_b32 s82, s82, 0xffffff                               // 00000000D9A0: 8652FF52 00FFFFFF
	s_mul_i32 s82, s82, s71                                    // 00000000D9A8: 92524752
	s_mul_i32 s61, s60, s61                                    // 00000000D9AC: 923D3D3C
	s_add_u32 s82, s82, s61                                    // 00000000D9B0: 80523D52
	v_mul_lo_u32 v6, v5, s82                                   // 00000000D9B4: D2850006 0000A505
	v_readlane_b32 s82, v3, 17                                 // 00000000D9BC: D2890052 00012303
	s_lshr_b32 s61, s82, 24                                    // 00000000D9C4: 8F3D9852
	s_and_b32 s82, s82, 0xffffff                               // 00000000D9C8: 8652FF52 00FFFFFF
	s_mul_i32 s82, s82, s71                                    // 00000000D9D0: 92524752
	s_mul_i32 s61, s60, s61                                    // 00000000D9D4: 923D3D3C
	s_add_u32 s82, s82, s61                                    // 00000000D9D8: 80523D52
	v_mul_lo_u32 v7, v4, s82                                   // 00000000D9DC: D2850007 0000A504
	v_add_u32_e32 v66, v6, v7                                  // 00000000D9E4: 68840F06
	v_readlane_b32 s82, v3, 18                                 // 00000000D9E8: D2890052 00012503
	s_lshr_b32 s61, s82, 24                                    // 00000000D9F0: 8F3D9852
	s_and_b32 s82, s82, 0xffffff                               // 00000000D9F4: 8652FF52 00FFFFFF
	s_mul_i32 s82, s82, s71                                    // 00000000D9FC: 92524752
	s_mul_i32 s61, s60, s61                                    // 00000000DA00: 923D3D3C
	s_add_u32 s82, s82, s61                                    // 00000000DA04: 80523D52
	v_mul_lo_u32 v6, v5, s82                                   // 00000000DA08: D2850006 0000A505
	v_readlane_b32 s82, v3, 19                                 // 00000000DA10: D2890052 00012703
	s_lshr_b32 s61, s82, 24                                    // 00000000DA18: 8F3D9852
	s_and_b32 s82, s82, 0xffffff                               // 00000000DA1C: 8652FF52 00FFFFFF
	s_mul_i32 s82, s82, s71                                    // 00000000DA24: 92524752
	s_mul_i32 s61, s60, s61                                    // 00000000DA28: 923D3D3C
	s_add_u32 s82, s82, s61                                    // 00000000DA2C: 80523D52
	v_mul_lo_u32 v7, v4, s82                                   // 00000000DA30: D2850007 0000A504
	v_add_u32_e32 v67, v6, v7                                  // 00000000DA38: 68860F06
	v_readlane_b32 s82, v3, 20                                 // 00000000DA3C: D2890052 00012903
	s_lshr_b32 s61, s82, 24                                    // 00000000DA44: 8F3D9852
	s_and_b32 s82, s82, 0xffffff                               // 00000000DA48: 8652FF52 00FFFFFF
	s_mul_i32 s82, s82, s71                                    // 00000000DA50: 92524752
	s_mul_i32 s61, s60, s61                                    // 00000000DA54: 923D3D3C
	s_add_u32 s82, s82, s61                                    // 00000000DA58: 80523D52
	v_mul_lo_u32 v6, v5, s82                                   // 00000000DA5C: D2850006 0000A505
	v_readlane_b32 s82, v3, 21                                 // 00000000DA64: D2890052 00012B03
	s_lshr_b32 s61, s82, 24                                    // 00000000DA6C: 8F3D9852
	s_and_b32 s82, s82, 0xffffff                               // 00000000DA70: 8652FF52 00FFFFFF
	s_mul_i32 s82, s82, s71                                    // 00000000DA78: 92524752
	s_mul_i32 s61, s60, s61                                    // 00000000DA7C: 923D3D3C
	s_add_u32 s82, s82, s61                                    // 00000000DA80: 80523D52
	v_mul_lo_u32 v7, v4, s82                                   // 00000000DA84: D2850007 0000A504
	v_add_u32_e32 v68, v6, v7                                  // 00000000DA8C: 68880F06
	v_readlane_b32 s82, v3, 22                                 // 00000000DA90: D2890052 00012D03
	s_lshr_b32 s61, s82, 24                                    // 00000000DA98: 8F3D9852
	s_and_b32 s82, s82, 0xffffff                               // 00000000DA9C: 8652FF52 00FFFFFF
	s_mul_i32 s82, s82, s71                                    // 00000000DAA4: 92524752
	s_mul_i32 s61, s60, s61                                    // 00000000DAA8: 923D3D3C
	s_add_u32 s82, s82, s61                                    // 00000000DAAC: 80523D52
	v_mul_lo_u32 v6, v5, s82                                   // 00000000DAB0: D2850006 0000A505
	v_readlane_b32 s82, v3, 23                                 // 00000000DAB8: D2890052 00012F03
	s_lshr_b32 s61, s82, 24                                    // 00000000DAC0: 8F3D9852
	s_and_b32 s82, s82, 0xffffff                               // 00000000DAC4: 8652FF52 00FFFFFF
	s_mul_i32 s82, s82, s71                                    // 00000000DACC: 92524752
	s_mul_i32 s61, s60, s61                                    // 00000000DAD0: 923D3D3C
	s_add_u32 s82, s82, s61                                    // 00000000DAD4: 80523D52
	v_mul_lo_u32 v7, v4, s82                                   // 00000000DAD8: D2850007 0000A504
	v_add_u32_e32 v69, v6, v7                                  // 00000000DAE0: 688A0F06
	v_readlane_b32 s82, v3, 24                                 // 00000000DAE4: D2890052 00013103
	s_lshr_b32 s61, s82, 24                                    // 00000000DAEC: 8F3D9852
	s_and_b32 s82, s82, 0xffffff                               // 00000000DAF0: 8652FF52 00FFFFFF
	s_mul_i32 s82, s82, s71                                    // 00000000DAF8: 92524752
	s_mul_i32 s61, s60, s61                                    // 00000000DAFC: 923D3D3C
	s_add_u32 s82, s82, s61                                    // 00000000DB00: 80523D52
	v_mul_lo_u32 v6, v5, s82                                   // 00000000DB04: D2850006 0000A505
	v_readlane_b32 s82, v3, 25                                 // 00000000DB0C: D2890052 00013303
	s_lshr_b32 s61, s82, 24                                    // 00000000DB14: 8F3D9852
	s_and_b32 s82, s82, 0xffffff                               // 00000000DB18: 8652FF52 00FFFFFF
	s_mul_i32 s82, s82, s71                                    // 00000000DB20: 92524752
	s_mul_i32 s61, s60, s61                                    // 00000000DB24: 923D3D3C
	s_add_u32 s82, s82, s61                                    // 00000000DB28: 80523D52
	v_mul_lo_u32 v7, v4, s82                                   // 00000000DB2C: D2850007 0000A504
	v_add_u32_e32 v70, v6, v7                                  // 00000000DB34: 688C0F06
	v_readlane_b32 s82, v3, 26                                 // 00000000DB38: D2890052 00013503
	s_lshr_b32 s61, s82, 24                                    // 00000000DB40: 8F3D9852
	s_and_b32 s82, s82, 0xffffff                               // 00000000DB44: 8652FF52 00FFFFFF
	s_mul_i32 s82, s82, s71                                    // 00000000DB4C: 92524752
	s_mul_i32 s61, s60, s61                                    // 00000000DB50: 923D3D3C
	s_add_u32 s82, s82, s61                                    // 00000000DB54: 80523D52
	v_mul_lo_u32 v6, v5, s82                                   // 00000000DB58: D2850006 0000A505
	v_readlane_b32 s82, v3, 27                                 // 00000000DB60: D2890052 00013703
	s_lshr_b32 s61, s82, 24                                    // 00000000DB68: 8F3D9852
	s_and_b32 s82, s82, 0xffffff                               // 00000000DB6C: 8652FF52 00FFFFFF
	s_mul_i32 s82, s82, s71                                    // 00000000DB74: 92524752
	s_mul_i32 s61, s60, s61                                    // 00000000DB78: 923D3D3C
	s_add_u32 s82, s82, s61                                    // 00000000DB7C: 80523D52
	v_mul_lo_u32 v7, v4, s82                                   // 00000000DB80: D2850007 0000A504
	v_add_u32_e32 v71, v6, v7                                  // 00000000DB88: 688E0F06
	v_and_b32_e32 v4, 31, v0                                   // 00000000DB8C: 2608009F
	v_lshrrev_b32_e32 v4, 1, v4                                // 00000000DB90: 20080881
	s_cmp_eq_u32 s88, 0                                        // 00000000DB94: BF068058
	s_cselect_b32 s61, 2, 4                                    // 00000000DB98: 853D8482
	v_mul_lo_u32 v4, v4, s61                                   // 00000000DB9C: D2850004 00007B04
	v_and_b32_e64 v5, v0, 1                                    // 00000000DBA4: D1130005 00010300
	v_add_u32_e32 v4, v4, v5                                   // 00000000DBAC: 68080B04
	v_lshlrev_b32_e32 v4, 2, v4                                // 00000000DBB0: 24080882
	v_add_u32_e32 v58, v58, v4                                 // 00000000DBB4: 6874093A
	v_add_u32_e32 v59, v59, v4                                 // 00000000DBB8: 6876093B
	v_add_u32_e32 v60, v60, v4                                 // 00000000DBBC: 6878093C
	v_add_u32_e32 v61, v61, v4                                 // 00000000DBC0: 687A093D
	v_add_u32_e32 v62, v62, v4                                 // 00000000DBC4: 687C093E
	v_add_u32_e32 v63, v63, v4                                 // 00000000DBC8: 687E093F
	v_add_u32_e32 v64, v64, v4                                 // 00000000DBCC: 68800940
	v_add_u32_e32 v65, v65, v4                                 // 00000000DBD0: 68820941
	v_add_u32_e32 v66, v66, v4                                 // 00000000DBD4: 68840942
	v_add_u32_e32 v67, v67, v4                                 // 00000000DBD8: 68860943
	v_add_u32_e32 v68, v68, v4                                 // 00000000DBDC: 68880944
	v_add_u32_e32 v69, v69, v4                                 // 00000000DBE0: 688A0945
	v_add_u32_e32 v70, v70, v4                                 // 00000000DBE4: 688C0946
	v_add_u32_e32 v71, v71, v4                                 // 00000000DBE8: 688E0947
	s_waitcnt lgkmcnt(0)                                       // 00000000DBEC: BF8CC07F
	s_barrier                                                  // 00000000DBF0: BF8A0000
	ds_read_b32 v76, v21                                       // 00000000DBF4: D86C0000 4C000015
	ds_read_b32 v77, v21 offset:64                             // 00000000DBFC: D86C0040 4D000015
	ds_read_b32 v78, v21 offset:2176                           // 00000000DC04: D86C0880 4E000015
	ds_read_b32 v79, v21 offset:2240                           // 00000000DC0C: D86C08C0 4F000015
	ds_read_b32 v80, v21 offset:4352                           // 00000000DC14: D86C1100 50000015
	ds_read_b32 v81, v21 offset:4416                           // 00000000DC1C: D86C1140 51000015
	ds_read_b32 v82, v21 offset:6528                           // 00000000DC24: D86C1980 52000015
	ds_read_b32 v83, v21 offset:6592                           // 00000000DC2C: D86C19C0 53000015
	ds_read_b32 v84, v21 offset:8704                           // 00000000DC34: D86C2200 54000015
	ds_read_b32 v85, v21 offset:8768                           // 00000000DC3C: D86C2240 55000015
	ds_read_b32 v86, v21 offset:10880                          // 00000000DC44: D86C2A80 56000015
	ds_read_b32 v87, v21 offset:10944                          // 00000000DC4C: D86C2AC0 57000015
	ds_read_b32 v88, v21 offset:13056                          // 00000000DC54: D86C3300 58000015
	ds_read_b32 v89, v21 offset:13120                          // 00000000DC5C: D86C3340 59000015
	ds_read_b32 v90, v21 offset:15232                          // 00000000DC64: D86C3B80 5A000015
	ds_read_b32 v91, v21 offset:15296                          // 00000000DC6C: D86C3BC0 5B000015
	ds_read_b32 v92, v21 offset:17408                          // 00000000DC74: D86C4400 5C000015
	ds_read_b32 v93, v21 offset:17472                          // 00000000DC7C: D86C4440 5D000015
	ds_read_b32 v94, v21 offset:19584                          // 00000000DC84: D86C4C80 5E000015
	ds_read_b32 v95, v21 offset:19648                          // 00000000DC8C: D86C4CC0 5F000015
	ds_read_b32 v96, v21 offset:21760                          // 00000000DC94: D86C5500 60000015
	ds_read_b32 v97, v21 offset:21824                          // 00000000DC9C: D86C5540 61000015
	ds_read_b32 v98, v21 offset:23936                          // 00000000DCA4: D86C5D80 62000015
	ds_read_b32 v99, v21 offset:24000                          // 00000000DCAC: D86C5DC0 63000015
	ds_read_b32 v100, v21 offset:26112                         // 00000000DCB4: D86C6600 64000015
	ds_read_b32 v101, v21 offset:26176                         // 00000000DCBC: D86C6640 65000015
	ds_read_b32 v102, v21 offset:28288                         // 00000000DCC4: D86C6E80 66000015
	ds_read_b32 v103, v21 offset:28352                         // 00000000DCCC: D86C6EC0 67000015
	s_waitcnt lgkmcnt(0)                                       // 00000000DCD4: BF8CC07F
	s_mov_b32 s36, -1                                          // 00000000DCD8: BEA400C1
	s_mov_b32 s37, -1                                          // 00000000DCDC: BEA500C1
	v_mov_b32_e32 v7, 0                                        // 00000000DCE0: 7E0E0280
	s_or_b32 s9, s9, 0x40000                                   // 00000000DCE4: 8709FF09 00040000
	s_mov_b64 exec, s[36:37]                                   // 00000000DCEC: BEFE0124
	v_mov_b32_e32 v6, v58                                      // 00000000DCF0: 7E0C033A
	s_mov_b64 s[60:61], 0                                      // 00000000DCF4: BEBC0180
	v_readlane_b32 s82, v3, 0                                  // 00000000DCF8: D2890052 00010103
	s_and_b32 s82, s82, 0xffffff                               // 00000000DD00: 8652FF52 00FFFFFF
	s_cmp_lt_u32 s82, s66                                      // 00000000DD08: BF0A4252
	s_cselect_b32 s20, s36, s60                                // 00000000DD0C: 85143C24
	v_readlane_b32 s82, v3, 1                                  // 00000000DD10: D2890052 00010303
	s_and_b32 s82, s82, 0xffffff                               // 00000000DD18: 8652FF52 00FFFFFF
	s_cmp_lt_u32 s82, s66                                      // 00000000DD20: BF0A4252
	s_cselect_b32 s21, s36, s60                                // 00000000DD24: 85153C24
	s_mov_b64 exec, s[20:21]                                   // 00000000DD28: BEFE0114
	buffer_store_dword v76, v6, s[8:11], 0 offen               // 00000000DD2C: E0701000 80024C06
	buffer_store_dword v78, v6, s[8:11], 0 offen offset:128    // 00000000DD34: E0701080 80024E06
	s_mov_b64 exec, s[36:37]                                   // 00000000DD3C: BEFE0124
	v_mov_b32_e32 v6, v59                                      // 00000000DD40: 7E0C033B
	s_mov_b64 s[60:61], 0                                      // 00000000DD44: BEBC0180
	v_readlane_b32 s82, v3, 2                                  // 00000000DD48: D2890052 00010503
	s_and_b32 s82, s82, 0xffffff                               // 00000000DD50: 8652FF52 00FFFFFF
	s_cmp_lt_u32 s82, s66                                      // 00000000DD58: BF0A4252
	s_cselect_b32 s20, s36, s60                                // 00000000DD5C: 85143C24
	v_readlane_b32 s82, v3, 3                                  // 00000000DD60: D2890052 00010703
	s_and_b32 s82, s82, 0xffffff                               // 00000000DD68: 8652FF52 00FFFFFF
	s_cmp_lt_u32 s82, s66                                      // 00000000DD70: BF0A4252
	s_cselect_b32 s21, s36, s60                                // 00000000DD74: 85153C24
	s_mov_b64 exec, s[20:21]                                   // 00000000DD78: BEFE0114
	buffer_store_dword v77, v6, s[8:11], 0 offen               // 00000000DD7C: E0701000 80024D06
	buffer_store_dword v79, v6, s[8:11], 0 offen offset:128    // 00000000DD84: E0701080 80024F06
	s_mov_b64 exec, s[36:37]                                   // 00000000DD8C: BEFE0124
	v_mov_b32_e32 v6, v60                                      // 00000000DD90: 7E0C033C
	s_mov_b64 s[60:61], 0                                      // 00000000DD94: BEBC0180
	v_readlane_b32 s82, v3, 4                                  // 00000000DD98: D2890052 00010903
	s_and_b32 s82, s82, 0xffffff                               // 00000000DDA0: 8652FF52 00FFFFFF
	s_cmp_lt_u32 s82, s66                                      // 00000000DDA8: BF0A4252
	s_cselect_b32 s20, s36, s60                                // 00000000DDAC: 85143C24
	v_readlane_b32 s82, v3, 5                                  // 00000000DDB0: D2890052 00010B03
	s_and_b32 s82, s82, 0xffffff                               // 00000000DDB8: 8652FF52 00FFFFFF
	s_cmp_lt_u32 s82, s66                                      // 00000000DDC0: BF0A4252
	s_cselect_b32 s21, s36, s60                                // 00000000DDC4: 85153C24
	s_mov_b64 exec, s[20:21]                                   // 00000000DDC8: BEFE0114
	buffer_store_dword v80, v6, s[8:11], 0 offen               // 00000000DDCC: E0701000 80025006
	buffer_store_dword v82, v6, s[8:11], 0 offen offset:128    // 00000000DDD4: E0701080 80025206
	s_mov_b64 exec, s[36:37]                                   // 00000000DDDC: BEFE0124
	v_mov_b32_e32 v6, v61                                      // 00000000DDE0: 7E0C033D
	s_mov_b64 s[60:61], 0                                      // 00000000DDE4: BEBC0180
	v_readlane_b32 s82, v3, 6                                  // 00000000DDE8: D2890052 00010D03
	s_and_b32 s82, s82, 0xffffff                               // 00000000DDF0: 8652FF52 00FFFFFF
	s_cmp_lt_u32 s82, s66                                      // 00000000DDF8: BF0A4252
	s_cselect_b32 s20, s36, s60                                // 00000000DDFC: 85143C24
	v_readlane_b32 s82, v3, 7                                  // 00000000DE00: D2890052 00010F03
	s_and_b32 s82, s82, 0xffffff                               // 00000000DE08: 8652FF52 00FFFFFF
	s_cmp_lt_u32 s82, s66                                      // 00000000DE10: BF0A4252
	s_cselect_b32 s21, s36, s60                                // 00000000DE14: 85153C24
	s_mov_b64 exec, s[20:21]                                   // 00000000DE18: BEFE0114
	buffer_store_dword v81, v6, s[8:11], 0 offen               // 00000000DE1C: E0701000 80025106
	buffer_store_dword v83, v6, s[8:11], 0 offen offset:128    // 00000000DE24: E0701080 80025306
	s_mov_b64 exec, s[36:37]                                   // 00000000DE2C: BEFE0124
	v_mov_b32_e32 v6, v62                                      // 00000000DE30: 7E0C033E
	s_mov_b64 s[60:61], 0                                      // 00000000DE34: BEBC0180
	v_readlane_b32 s82, v3, 8                                  // 00000000DE38: D2890052 00011103
	s_and_b32 s82, s82, 0xffffff                               // 00000000DE40: 8652FF52 00FFFFFF
	s_cmp_lt_u32 s82, s66                                      // 00000000DE48: BF0A4252
	s_cselect_b32 s20, s36, s60                                // 00000000DE4C: 85143C24
	v_readlane_b32 s82, v3, 9                                  // 00000000DE50: D2890052 00011303
	s_and_b32 s82, s82, 0xffffff                               // 00000000DE58: 8652FF52 00FFFFFF
	s_cmp_lt_u32 s82, s66                                      // 00000000DE60: BF0A4252
	s_cselect_b32 s21, s36, s60                                // 00000000DE64: 85153C24
	s_mov_b64 exec, s[20:21]                                   // 00000000DE68: BEFE0114
	buffer_store_dword v84, v6, s[8:11], 0 offen               // 00000000DE6C: E0701000 80025406
	buffer_store_dword v86, v6, s[8:11], 0 offen offset:128    // 00000000DE74: E0701080 80025606
	s_mov_b64 exec, s[36:37]                                   // 00000000DE7C: BEFE0124
	v_mov_b32_e32 v6, v63                                      // 00000000DE80: 7E0C033F
	s_mov_b64 s[60:61], 0                                      // 00000000DE84: BEBC0180
	v_readlane_b32 s82, v3, 10                                 // 00000000DE88: D2890052 00011503
	s_and_b32 s82, s82, 0xffffff                               // 00000000DE90: 8652FF52 00FFFFFF
	s_cmp_lt_u32 s82, s66                                      // 00000000DE98: BF0A4252
	s_cselect_b32 s20, s36, s60                                // 00000000DE9C: 85143C24
	v_readlane_b32 s82, v3, 11                                 // 00000000DEA0: D2890052 00011703
	s_and_b32 s82, s82, 0xffffff                               // 00000000DEA8: 8652FF52 00FFFFFF
	s_cmp_lt_u32 s82, s66                                      // 00000000DEB0: BF0A4252
	s_cselect_b32 s21, s36, s60                                // 00000000DEB4: 85153C24
	s_mov_b64 exec, s[20:21]                                   // 00000000DEB8: BEFE0114
	buffer_store_dword v85, v6, s[8:11], 0 offen               // 00000000DEBC: E0701000 80025506
	buffer_store_dword v87, v6, s[8:11], 0 offen offset:128    // 00000000DEC4: E0701080 80025706
	s_mov_b64 exec, s[36:37]                                   // 00000000DECC: BEFE0124
	v_mov_b32_e32 v6, v64                                      // 00000000DED0: 7E0C0340
	s_mov_b64 s[60:61], 0                                      // 00000000DED4: BEBC0180
	v_readlane_b32 s82, v3, 12                                 // 00000000DED8: D2890052 00011903
	s_and_b32 s82, s82, 0xffffff                               // 00000000DEE0: 8652FF52 00FFFFFF
	s_cmp_lt_u32 s82, s66                                      // 00000000DEE8: BF0A4252
	s_cselect_b32 s20, s36, s60                                // 00000000DEEC: 85143C24
	v_readlane_b32 s82, v3, 13                                 // 00000000DEF0: D2890052 00011B03
	s_and_b32 s82, s82, 0xffffff                               // 00000000DEF8: 8652FF52 00FFFFFF
	s_cmp_lt_u32 s82, s66                                      // 00000000DF00: BF0A4252
	s_cselect_b32 s21, s36, s60                                // 00000000DF04: 85153C24
	s_mov_b64 exec, s[20:21]                                   // 00000000DF08: BEFE0114
	buffer_store_dword v88, v6, s[8:11], 0 offen               // 00000000DF0C: E0701000 80025806
	buffer_store_dword v90, v6, s[8:11], 0 offen offset:128    // 00000000DF14: E0701080 80025A06
	s_mov_b64 exec, s[36:37]                                   // 00000000DF1C: BEFE0124
	v_mov_b32_e32 v6, v65                                      // 00000000DF20: 7E0C0341
	s_mov_b64 s[60:61], 0                                      // 00000000DF24: BEBC0180
	v_readlane_b32 s82, v3, 14                                 // 00000000DF28: D2890052 00011D03
	s_and_b32 s82, s82, 0xffffff                               // 00000000DF30: 8652FF52 00FFFFFF
	s_cmp_lt_u32 s82, s66                                      // 00000000DF38: BF0A4252
	s_cselect_b32 s20, s36, s60                                // 00000000DF3C: 85143C24
	v_readlane_b32 s82, v3, 15                                 // 00000000DF40: D2890052 00011F03
	s_and_b32 s82, s82, 0xffffff                               // 00000000DF48: 8652FF52 00FFFFFF
	s_cmp_lt_u32 s82, s66                                      // 00000000DF50: BF0A4252
	s_cselect_b32 s21, s36, s60                                // 00000000DF54: 85153C24
	s_mov_b64 exec, s[20:21]                                   // 00000000DF58: BEFE0114
	buffer_store_dword v89, v6, s[8:11], 0 offen               // 00000000DF5C: E0701000 80025906
	buffer_store_dword v91, v6, s[8:11], 0 offen offset:128    // 00000000DF64: E0701080 80025B06
	s_mov_b64 exec, s[36:37]                                   // 00000000DF6C: BEFE0124
	v_mov_b32_e32 v6, v66                                      // 00000000DF70: 7E0C0342
	s_mov_b64 s[60:61], 0                                      // 00000000DF74: BEBC0180
	v_readlane_b32 s82, v3, 16                                 // 00000000DF78: D2890052 00012103
	s_and_b32 s82, s82, 0xffffff                               // 00000000DF80: 8652FF52 00FFFFFF
	s_cmp_lt_u32 s82, s66                                      // 00000000DF88: BF0A4252
	s_cselect_b32 s20, s36, s60                                // 00000000DF8C: 85143C24
	v_readlane_b32 s82, v3, 17                                 // 00000000DF90: D2890052 00012303
	s_and_b32 s82, s82, 0xffffff                               // 00000000DF98: 8652FF52 00FFFFFF
	s_cmp_lt_u32 s82, s66                                      // 00000000DFA0: BF0A4252
	s_cselect_b32 s21, s36, s60                                // 00000000DFA4: 85153C24
	s_mov_b64 exec, s[20:21]                                   // 00000000DFA8: BEFE0114
	buffer_store_dword v92, v6, s[8:11], 0 offen               // 00000000DFAC: E0701000 80025C06
	buffer_store_dword v94, v6, s[8:11], 0 offen offset:128    // 00000000DFB4: E0701080 80025E06
	s_mov_b64 exec, s[36:37]                                   // 00000000DFBC: BEFE0124
	v_mov_b32_e32 v6, v67                                      // 00000000DFC0: 7E0C0343
	s_mov_b64 s[60:61], 0                                      // 00000000DFC4: BEBC0180
	v_readlane_b32 s82, v3, 18                                 // 00000000DFC8: D2890052 00012503
	s_and_b32 s82, s82, 0xffffff                               // 00000000DFD0: 8652FF52 00FFFFFF
	s_cmp_lt_u32 s82, s66                                      // 00000000DFD8: BF0A4252
	s_cselect_b32 s20, s36, s60                                // 00000000DFDC: 85143C24
	v_readlane_b32 s82, v3, 19                                 // 00000000DFE0: D2890052 00012703
	s_and_b32 s82, s82, 0xffffff                               // 00000000DFE8: 8652FF52 00FFFFFF
	s_cmp_lt_u32 s82, s66                                      // 00000000DFF0: BF0A4252
	s_cselect_b32 s21, s36, s60                                // 00000000DFF4: 85153C24
	s_mov_b64 exec, s[20:21]                                   // 00000000DFF8: BEFE0114
	buffer_store_dword v93, v6, s[8:11], 0 offen               // 00000000DFFC: E0701000 80025D06
	buffer_store_dword v95, v6, s[8:11], 0 offen offset:128    // 00000000E004: E0701080 80025F06
	s_mov_b64 exec, s[36:37]                                   // 00000000E00C: BEFE0124
	v_mov_b32_e32 v6, v68                                      // 00000000E010: 7E0C0344
	s_mov_b64 s[60:61], 0                                      // 00000000E014: BEBC0180
	v_readlane_b32 s82, v3, 20                                 // 00000000E018: D2890052 00012903
	s_and_b32 s82, s82, 0xffffff                               // 00000000E020: 8652FF52 00FFFFFF
	s_cmp_lt_u32 s82, s66                                      // 00000000E028: BF0A4252
	s_cselect_b32 s20, s36, s60                                // 00000000E02C: 85143C24
	v_readlane_b32 s82, v3, 21                                 // 00000000E030: D2890052 00012B03
	s_and_b32 s82, s82, 0xffffff                               // 00000000E038: 8652FF52 00FFFFFF
	s_cmp_lt_u32 s82, s66                                      // 00000000E040: BF0A4252
	s_cselect_b32 s21, s36, s60                                // 00000000E044: 85153C24
	s_mov_b64 exec, s[20:21]                                   // 00000000E048: BEFE0114
	buffer_store_dword v96, v6, s[8:11], 0 offen               // 00000000E04C: E0701000 80026006
	buffer_store_dword v98, v6, s[8:11], 0 offen offset:128    // 00000000E054: E0701080 80026206
	s_mov_b64 exec, s[36:37]                                   // 00000000E05C: BEFE0124
	v_mov_b32_e32 v6, v69                                      // 00000000E060: 7E0C0345
	s_mov_b64 s[60:61], 0                                      // 00000000E064: BEBC0180
	v_readlane_b32 s82, v3, 22                                 // 00000000E068: D2890052 00012D03
	s_and_b32 s82, s82, 0xffffff                               // 00000000E070: 8652FF52 00FFFFFF
	s_cmp_lt_u32 s82, s66                                      // 00000000E078: BF0A4252
	s_cselect_b32 s20, s36, s60                                // 00000000E07C: 85143C24
	v_readlane_b32 s82, v3, 23                                 // 00000000E080: D2890052 00012F03
	s_and_b32 s82, s82, 0xffffff                               // 00000000E088: 8652FF52 00FFFFFF
	s_cmp_lt_u32 s82, s66                                      // 00000000E090: BF0A4252
	s_cselect_b32 s21, s36, s60                                // 00000000E094: 85153C24
	s_mov_b64 exec, s[20:21]                                   // 00000000E098: BEFE0114
	buffer_store_dword v97, v6, s[8:11], 0 offen               // 00000000E09C: E0701000 80026106
	buffer_store_dword v99, v6, s[8:11], 0 offen offset:128    // 00000000E0A4: E0701080 80026306
	s_mov_b64 exec, s[36:37]                                   // 00000000E0AC: BEFE0124
	v_mov_b32_e32 v6, v70                                      // 00000000E0B0: 7E0C0346
	s_mov_b64 s[60:61], 0                                      // 00000000E0B4: BEBC0180
	v_readlane_b32 s82, v3, 24                                 // 00000000E0B8: D2890052 00013103
	s_and_b32 s82, s82, 0xffffff                               // 00000000E0C0: 8652FF52 00FFFFFF
	s_cmp_lt_u32 s82, s66                                      // 00000000E0C8: BF0A4252
	s_cselect_b32 s20, s36, s60                                // 00000000E0CC: 85143C24
	v_readlane_b32 s82, v3, 25                                 // 00000000E0D0: D2890052 00013303
	s_and_b32 s82, s82, 0xffffff                               // 00000000E0D8: 8652FF52 00FFFFFF
	s_cmp_lt_u32 s82, s66                                      // 00000000E0E0: BF0A4252
	s_cselect_b32 s21, s36, s60                                // 00000000E0E4: 85153C24
	s_mov_b64 exec, s[20:21]                                   // 00000000E0E8: BEFE0114
	buffer_store_dword v100, v6, s[8:11], 0 offen              // 00000000E0EC: E0701000 80026406
	buffer_store_dword v102, v6, s[8:11], 0 offen offset:128   // 00000000E0F4: E0701080 80026606
	s_mov_b64 exec, s[36:37]                                   // 00000000E0FC: BEFE0124
	v_mov_b32_e32 v6, v71                                      // 00000000E100: 7E0C0347
	s_mov_b64 s[60:61], 0                                      // 00000000E104: BEBC0180
	v_readlane_b32 s82, v3, 26                                 // 00000000E108: D2890052 00013503
	s_and_b32 s82, s82, 0xffffff                               // 00000000E110: 8652FF52 00FFFFFF
	s_cmp_lt_u32 s82, s66                                      // 00000000E118: BF0A4252
	s_cselect_b32 s20, s36, s60                                // 00000000E11C: 85143C24
	v_readlane_b32 s82, v3, 27                                 // 00000000E120: D2890052 00013703
	s_and_b32 s82, s82, 0xffffff                               // 00000000E128: 8652FF52 00FFFFFF
	s_cmp_lt_u32 s82, s66                                      // 00000000E130: BF0A4252
	s_cselect_b32 s21, s36, s60                                // 00000000E134: 85153C24
	s_mov_b64 exec, s[20:21]                                   // 00000000E138: BEFE0114
	buffer_store_dword v101, v6, s[8:11], 0 offen              // 00000000E13C: E0701000 80026506
	buffer_store_dword v103, v6, s[8:11], 0 offen offset:128   // 00000000E144: E0701080 80026706
	s_mov_b64 exec, s[36:37]                                   // 00000000E14C: BEFE0124
	s_branch label_34E6                                        // 00000000E150: BF82070E

000000000000e154 <label_2DD8>:
	ds_write_b64 v20, v[76:77]                                 // 00000000E154: D89A0000 00004C14
	ds_write_b64 v20, v[80:81] offset:4352                     // 00000000E15C: D89A1100 00005014
	ds_write_b64 v20, v[84:85] offset:8704                     // 00000000E164: D89A2200 00005414
	ds_write_b64 v20, v[88:89] offset:13056                    // 00000000E16C: D89A3300 00005814
	ds_write_b64 v20, v[92:93] offset:17408                    // 00000000E174: D89A4400 00005C14
	ds_write_b64 v20, v[96:97] offset:21760                    // 00000000E17C: D89A5500 00006014
	ds_write_b64 v20, v[100:101] offset:26112                  // 00000000E184: D89A6600 00006414
	ds_write_b64 v20, v[104:105] offset:2176                   // 00000000E18C: D89A0880 00006814
	ds_write_b64 v20, v[108:109] offset:6528                   // 00000000E194: D89A1980 00006C14
	ds_write_b64 v20, v[112:113] offset:10880                  // 00000000E19C: D89A2A80 00007014
	ds_write_b64 v20, v[116:117] offset:15232                  // 00000000E1A4: D89A3B80 00007414
	ds_write_b64 v20, v[120:121] offset:19584                  // 00000000E1AC: D89A4C80 00007814
	ds_write_b64 v20, v[124:125] offset:23936                  // 00000000E1B4: D89A5D80 00007C14
	ds_write_b64 v20, v[128:129] offset:28288                  // 00000000E1BC: D89A6E80 00008014
	v_lshrrev_b32_e32 v4, 5, v0                                // 00000000E1C4: 20080085
	v_xor_b32_e32 v5, 1, v4                                    // 00000000E1C8: 2A0A0881
	s_mul_i32 s60, s65, 2                                      // 00000000E1CC: 923C8241
	s_cmp_eq_u32 s88, 0                                        // 00000000E1D0: BF068058
	s_cselect_b32 s61, 1, 4                                    // 00000000E1D4: 853D8481
	s_mul_i32 s60, s61, s60                                    // 00000000E1D8: 923C3C3D
	v_readlane_b32 s82, v3, 0                                  // 00000000E1DC: D2890052 00010103
	s_lshr_b32 s61, s82, 24                                    // 00000000E1E4: 8F3D9852
	s_and_b32 s82, s82, 0xffffff                               // 00000000E1E8: 8652FF52 00FFFFFF
	s_mul_i32 s82, s82, s71                                    // 00000000E1F0: 92524752
	s_mul_i32 s61, s60, s61                                    // 00000000E1F4: 923D3D3C
	s_add_u32 s82, s82, s61                                    // 00000000E1F8: 80523D52
	v_mul_lo_u32 v6, v5, s82                                   // 00000000E1FC: D2850006 0000A505
	v_readlane_b32 s82, v3, 1                                  // 00000000E204: D2890052 00010303
	s_lshr_b32 s61, s82, 24                                    // 00000000E20C: 8F3D9852
	s_and_b32 s82, s82, 0xffffff                               // 00000000E210: 8652FF52 00FFFFFF
	s_mul_i32 s82, s82, s71                                    // 00000000E218: 92524752
	s_mul_i32 s61, s60, s61                                    // 00000000E21C: 923D3D3C
	s_add_u32 s82, s82, s61                                    // 00000000E220: 80523D52
	v_mul_lo_u32 v7, v4, s82                                   // 00000000E224: D2850007 0000A504
	v_add_u32_e32 v58, v6, v7                                  // 00000000E22C: 68740F06
	v_readlane_b32 s82, v3, 2                                  // 00000000E230: D2890052 00010503
	s_lshr_b32 s61, s82, 24                                    // 00000000E238: 8F3D9852
	s_and_b32 s82, s82, 0xffffff                               // 00000000E23C: 8652FF52 00FFFFFF
	s_mul_i32 s82, s82, s71                                    // 00000000E244: 92524752
	s_mul_i32 s61, s60, s61                                    // 00000000E248: 923D3D3C
	s_add_u32 s82, s82, s61                                    // 00000000E24C: 80523D52
	v_mul_lo_u32 v6, v5, s82                                   // 00000000E250: D2850006 0000A505
	v_readlane_b32 s82, v3, 3                                  // 00000000E258: D2890052 00010703
	s_lshr_b32 s61, s82, 24                                    // 00000000E260: 8F3D9852
	s_and_b32 s82, s82, 0xffffff                               // 00000000E264: 8652FF52 00FFFFFF
	s_mul_i32 s82, s82, s71                                    // 00000000E26C: 92524752
	s_mul_i32 s61, s60, s61                                    // 00000000E270: 923D3D3C
	s_add_u32 s82, s82, s61                                    // 00000000E274: 80523D52
	v_mul_lo_u32 v7, v4, s82                                   // 00000000E278: D2850007 0000A504
	v_add_u32_e32 v59, v6, v7                                  // 00000000E280: 68760F06
	v_readlane_b32 s82, v3, 4                                  // 00000000E284: D2890052 00010903
	s_lshr_b32 s61, s82, 24                                    // 00000000E28C: 8F3D9852
	s_and_b32 s82, s82, 0xffffff                               // 00000000E290: 8652FF52 00FFFFFF
	s_mul_i32 s82, s82, s71                                    // 00000000E298: 92524752
	s_mul_i32 s61, s60, s61                                    // 00000000E29C: 923D3D3C
	s_add_u32 s82, s82, s61                                    // 00000000E2A0: 80523D52
	v_mul_lo_u32 v6, v5, s82                                   // 00000000E2A4: D2850006 0000A505
	v_readlane_b32 s82, v3, 5                                  // 00000000E2AC: D2890052 00010B03
	s_lshr_b32 s61, s82, 24                                    // 00000000E2B4: 8F3D9852
	s_and_b32 s82, s82, 0xffffff                               // 00000000E2B8: 8652FF52 00FFFFFF
	s_mul_i32 s82, s82, s71                                    // 00000000E2C0: 92524752
	s_mul_i32 s61, s60, s61                                    // 00000000E2C4: 923D3D3C
	s_add_u32 s82, s82, s61                                    // 00000000E2C8: 80523D52
	v_mul_lo_u32 v7, v4, s82                                   // 00000000E2CC: D2850007 0000A504
	v_add_u32_e32 v60, v6, v7                                  // 00000000E2D4: 68780F06
	v_readlane_b32 s82, v3, 6                                  // 00000000E2D8: D2890052 00010D03
	s_lshr_b32 s61, s82, 24                                    // 00000000E2E0: 8F3D9852
	s_and_b32 s82, s82, 0xffffff                               // 00000000E2E4: 8652FF52 00FFFFFF
	s_mul_i32 s82, s82, s71                                    // 00000000E2EC: 92524752
	s_mul_i32 s61, s60, s61                                    // 00000000E2F0: 923D3D3C
	s_add_u32 s82, s82, s61                                    // 00000000E2F4: 80523D52
	v_mul_lo_u32 v6, v5, s82                                   // 00000000E2F8: D2850006 0000A505
	v_readlane_b32 s82, v3, 7                                  // 00000000E300: D2890052 00010F03
	s_lshr_b32 s61, s82, 24                                    // 00000000E308: 8F3D9852
	s_and_b32 s82, s82, 0xffffff                               // 00000000E30C: 8652FF52 00FFFFFF
	s_mul_i32 s82, s82, s71                                    // 00000000E314: 92524752
	s_mul_i32 s61, s60, s61                                    // 00000000E318: 923D3D3C
	s_add_u32 s82, s82, s61                                    // 00000000E31C: 80523D52
	v_mul_lo_u32 v7, v4, s82                                   // 00000000E320: D2850007 0000A504
	v_add_u32_e32 v61, v6, v7                                  // 00000000E328: 687A0F06
	v_readlane_b32 s82, v3, 8                                  // 00000000E32C: D2890052 00011103
	s_lshr_b32 s61, s82, 24                                    // 00000000E334: 8F3D9852
	s_and_b32 s82, s82, 0xffffff                               // 00000000E338: 8652FF52 00FFFFFF
	s_mul_i32 s82, s82, s71                                    // 00000000E340: 92524752
	s_mul_i32 s61, s60, s61                                    // 00000000E344: 923D3D3C
	s_add_u32 s82, s82, s61                                    // 00000000E348: 80523D52
	v_mul_lo_u32 v6, v5, s82                                   // 00000000E34C: D2850006 0000A505
	v_readlane_b32 s82, v3, 9                                  // 00000000E354: D2890052 00011303
	s_lshr_b32 s61, s82, 24                                    // 00000000E35C: 8F3D9852
	s_and_b32 s82, s82, 0xffffff                               // 00000000E360: 8652FF52 00FFFFFF
	s_mul_i32 s82, s82, s71                                    // 00000000E368: 92524752
	s_mul_i32 s61, s60, s61                                    // 00000000E36C: 923D3D3C
	s_add_u32 s82, s82, s61                                    // 00000000E370: 80523D52
	v_mul_lo_u32 v7, v4, s82                                   // 00000000E374: D2850007 0000A504
	v_add_u32_e32 v62, v6, v7                                  // 00000000E37C: 687C0F06
	v_readlane_b32 s82, v3, 10                                 // 00000000E380: D2890052 00011503
	s_lshr_b32 s61, s82, 24                                    // 00000000E388: 8F3D9852
	s_and_b32 s82, s82, 0xffffff                               // 00000000E38C: 8652FF52 00FFFFFF
	s_mul_i32 s82, s82, s71                                    // 00000000E394: 92524752
	s_mul_i32 s61, s60, s61                                    // 00000000E398: 923D3D3C
	s_add_u32 s82, s82, s61                                    // 00000000E39C: 80523D52
	v_mul_lo_u32 v6, v5, s82                                   // 00000000E3A0: D2850006 0000A505
	v_readlane_b32 s82, v3, 11                                 // 00000000E3A8: D2890052 00011703
	s_lshr_b32 s61, s82, 24                                    // 00000000E3B0: 8F3D9852
	s_and_b32 s82, s82, 0xffffff                               // 00000000E3B4: 8652FF52 00FFFFFF
	s_mul_i32 s82, s82, s71                                    // 00000000E3BC: 92524752
	s_mul_i32 s61, s60, s61                                    // 00000000E3C0: 923D3D3C
	s_add_u32 s82, s82, s61                                    // 00000000E3C4: 80523D52
	v_mul_lo_u32 v7, v4, s82                                   // 00000000E3C8: D2850007 0000A504
	v_add_u32_e32 v63, v6, v7                                  // 00000000E3D0: 687E0F06
	v_readlane_b32 s82, v3, 12                                 // 00000000E3D4: D2890052 00011903
	s_lshr_b32 s61, s82, 24                                    // 00000000E3DC: 8F3D9852
	s_and_b32 s82, s82, 0xffffff                               // 00000000E3E0: 8652FF52 00FFFFFF
	s_mul_i32 s82, s82, s71                                    // 00000000E3E8: 92524752
	s_mul_i32 s61, s60, s61                                    // 00000000E3EC: 923D3D3C
	s_add_u32 s82, s82, s61                                    // 00000000E3F0: 80523D52
	v_mul_lo_u32 v6, v5, s82                                   // 00000000E3F4: D2850006 0000A505
	v_readlane_b32 s82, v3, 13                                 // 00000000E3FC: D2890052 00011B03
	s_lshr_b32 s61, s82, 24                                    // 00000000E404: 8F3D9852
	s_and_b32 s82, s82, 0xffffff                               // 00000000E408: 8652FF52 00FFFFFF
	s_mul_i32 s82, s82, s71                                    // 00000000E410: 92524752
	s_mul_i32 s61, s60, s61                                    // 00000000E414: 923D3D3C
	s_add_u32 s82, s82, s61                                    // 00000000E418: 80523D52
	v_mul_lo_u32 v7, v4, s82                                   // 00000000E41C: D2850007 0000A504
	v_add_u32_e32 v64, v6, v7                                  // 00000000E424: 68800F06
	v_readlane_b32 s82, v3, 14                                 // 00000000E428: D2890052 00011D03
	s_lshr_b32 s61, s82, 24                                    // 00000000E430: 8F3D9852
	s_and_b32 s82, s82, 0xffffff                               // 00000000E434: 8652FF52 00FFFFFF
	s_mul_i32 s82, s82, s71                                    // 00000000E43C: 92524752
	s_mul_i32 s61, s60, s61                                    // 00000000E440: 923D3D3C
	s_add_u32 s82, s82, s61                                    // 00000000E444: 80523D52
	v_mul_lo_u32 v6, v5, s82                                   // 00000000E448: D2850006 0000A505
	v_readlane_b32 s82, v3, 15                                 // 00000000E450: D2890052 00011F03
	s_lshr_b32 s61, s82, 24                                    // 00000000E458: 8F3D9852
	s_and_b32 s82, s82, 0xffffff                               // 00000000E45C: 8652FF52 00FFFFFF
	s_mul_i32 s82, s82, s71                                    // 00000000E464: 92524752
	s_mul_i32 s61, s60, s61                                    // 00000000E468: 923D3D3C
	s_add_u32 s82, s82, s61                                    // 00000000E46C: 80523D52
	v_mul_lo_u32 v7, v4, s82                                   // 00000000E470: D2850007 0000A504
	v_add_u32_e32 v65, v6, v7                                  // 00000000E478: 68820F06
	v_readlane_b32 s82, v3, 16                                 // 00000000E47C: D2890052 00012103
	s_lshr_b32 s61, s82, 24                                    // 00000000E484: 8F3D9852
	s_and_b32 s82, s82, 0xffffff                               // 00000000E488: 8652FF52 00FFFFFF
	s_mul_i32 s82, s82, s71                                    // 00000000E490: 92524752
	s_mul_i32 s61, s60, s61                                    // 00000000E494: 923D3D3C
	s_add_u32 s82, s82, s61                                    // 00000000E498: 80523D52
	v_mul_lo_u32 v6, v5, s82                                   // 00000000E49C: D2850006 0000A505
	v_readlane_b32 s82, v3, 17                                 // 00000000E4A4: D2890052 00012303
	s_lshr_b32 s61, s82, 24                                    // 00000000E4AC: 8F3D9852
	s_and_b32 s82, s82, 0xffffff                               // 00000000E4B0: 8652FF52 00FFFFFF
	s_mul_i32 s82, s82, s71                                    // 00000000E4B8: 92524752
	s_mul_i32 s61, s60, s61                                    // 00000000E4BC: 923D3D3C
	s_add_u32 s82, s82, s61                                    // 00000000E4C0: 80523D52
	v_mul_lo_u32 v7, v4, s82                                   // 00000000E4C4: D2850007 0000A504
	v_add_u32_e32 v66, v6, v7                                  // 00000000E4CC: 68840F06
	v_readlane_b32 s82, v3, 18                                 // 00000000E4D0: D2890052 00012503
	s_lshr_b32 s61, s82, 24                                    // 00000000E4D8: 8F3D9852
	s_and_b32 s82, s82, 0xffffff                               // 00000000E4DC: 8652FF52 00FFFFFF
	s_mul_i32 s82, s82, s71                                    // 00000000E4E4: 92524752
	s_mul_i32 s61, s60, s61                                    // 00000000E4E8: 923D3D3C
	s_add_u32 s82, s82, s61                                    // 00000000E4EC: 80523D52
	v_mul_lo_u32 v6, v5, s82                                   // 00000000E4F0: D2850006 0000A505
	v_readlane_b32 s82, v3, 19                                 // 00000000E4F8: D2890052 00012703
	s_lshr_b32 s61, s82, 24                                    // 00000000E500: 8F3D9852
	s_and_b32 s82, s82, 0xffffff                               // 00000000E504: 8652FF52 00FFFFFF
	s_mul_i32 s82, s82, s71                                    // 00000000E50C: 92524752
	s_mul_i32 s61, s60, s61                                    // 00000000E510: 923D3D3C
	s_add_u32 s82, s82, s61                                    // 00000000E514: 80523D52
	v_mul_lo_u32 v7, v4, s82                                   // 00000000E518: D2850007 0000A504
	v_add_u32_e32 v67, v6, v7                                  // 00000000E520: 68860F06
	v_readlane_b32 s82, v3, 20                                 // 00000000E524: D2890052 00012903
	s_lshr_b32 s61, s82, 24                                    // 00000000E52C: 8F3D9852
	s_and_b32 s82, s82, 0xffffff                               // 00000000E530: 8652FF52 00FFFFFF
	s_mul_i32 s82, s82, s71                                    // 00000000E538: 92524752
	s_mul_i32 s61, s60, s61                                    // 00000000E53C: 923D3D3C
	s_add_u32 s82, s82, s61                                    // 00000000E540: 80523D52
	v_mul_lo_u32 v6, v5, s82                                   // 00000000E544: D2850006 0000A505
	v_readlane_b32 s82, v3, 21                                 // 00000000E54C: D2890052 00012B03
	s_lshr_b32 s61, s82, 24                                    // 00000000E554: 8F3D9852
	s_and_b32 s82, s82, 0xffffff                               // 00000000E558: 8652FF52 00FFFFFF
	s_mul_i32 s82, s82, s71                                    // 00000000E560: 92524752
	s_mul_i32 s61, s60, s61                                    // 00000000E564: 923D3D3C
	s_add_u32 s82, s82, s61                                    // 00000000E568: 80523D52
	v_mul_lo_u32 v7, v4, s82                                   // 00000000E56C: D2850007 0000A504
	v_add_u32_e32 v68, v6, v7                                  // 00000000E574: 68880F06
	v_readlane_b32 s82, v3, 22                                 // 00000000E578: D2890052 00012D03
	s_lshr_b32 s61, s82, 24                                    // 00000000E580: 8F3D9852
	s_and_b32 s82, s82, 0xffffff                               // 00000000E584: 8652FF52 00FFFFFF
	s_mul_i32 s82, s82, s71                                    // 00000000E58C: 92524752
	s_mul_i32 s61, s60, s61                                    // 00000000E590: 923D3D3C
	s_add_u32 s82, s82, s61                                    // 00000000E594: 80523D52
	v_mul_lo_u32 v6, v5, s82                                   // 00000000E598: D2850006 0000A505
	v_readlane_b32 s82, v3, 23                                 // 00000000E5A0: D2890052 00012F03
	s_lshr_b32 s61, s82, 24                                    // 00000000E5A8: 8F3D9852
	s_and_b32 s82, s82, 0xffffff                               // 00000000E5AC: 8652FF52 00FFFFFF
	s_mul_i32 s82, s82, s71                                    // 00000000E5B4: 92524752
	s_mul_i32 s61, s60, s61                                    // 00000000E5B8: 923D3D3C
	s_add_u32 s82, s82, s61                                    // 00000000E5BC: 80523D52
	v_mul_lo_u32 v7, v4, s82                                   // 00000000E5C0: D2850007 0000A504
	v_add_u32_e32 v69, v6, v7                                  // 00000000E5C8: 688A0F06
	v_readlane_b32 s82, v3, 24                                 // 00000000E5CC: D2890052 00013103
	s_lshr_b32 s61, s82, 24                                    // 00000000E5D4: 8F3D9852
	s_and_b32 s82, s82, 0xffffff                               // 00000000E5D8: 8652FF52 00FFFFFF
	s_mul_i32 s82, s82, s71                                    // 00000000E5E0: 92524752
	s_mul_i32 s61, s60, s61                                    // 00000000E5E4: 923D3D3C
	s_add_u32 s82, s82, s61                                    // 00000000E5E8: 80523D52
	v_mul_lo_u32 v6, v5, s82                                   // 00000000E5EC: D2850006 0000A505
	v_readlane_b32 s82, v3, 25                                 // 00000000E5F4: D2890052 00013303
	s_lshr_b32 s61, s82, 24                                    // 00000000E5FC: 8F3D9852
	s_and_b32 s82, s82, 0xffffff                               // 00000000E600: 8652FF52 00FFFFFF
	s_mul_i32 s82, s82, s71                                    // 00000000E608: 92524752
	s_mul_i32 s61, s60, s61                                    // 00000000E60C: 923D3D3C
	s_add_u32 s82, s82, s61                                    // 00000000E610: 80523D52
	v_mul_lo_u32 v7, v4, s82                                   // 00000000E614: D2850007 0000A504
	v_add_u32_e32 v70, v6, v7                                  // 00000000E61C: 688C0F06
	v_readlane_b32 s82, v3, 26                                 // 00000000E620: D2890052 00013503
	s_lshr_b32 s61, s82, 24                                    // 00000000E628: 8F3D9852
	s_and_b32 s82, s82, 0xffffff                               // 00000000E62C: 8652FF52 00FFFFFF
	s_mul_i32 s82, s82, s71                                    // 00000000E634: 92524752
	s_mul_i32 s61, s60, s61                                    // 00000000E638: 923D3D3C
	s_add_u32 s82, s82, s61                                    // 00000000E63C: 80523D52
	v_mul_lo_u32 v6, v5, s82                                   // 00000000E640: D2850006 0000A505
	v_readlane_b32 s82, v3, 27                                 // 00000000E648: D2890052 00013703
	s_lshr_b32 s61, s82, 24                                    // 00000000E650: 8F3D9852
	s_and_b32 s82, s82, 0xffffff                               // 00000000E654: 8652FF52 00FFFFFF
	s_mul_i32 s82, s82, s71                                    // 00000000E65C: 92524752
	s_mul_i32 s61, s60, s61                                    // 00000000E660: 923D3D3C
	s_add_u32 s82, s82, s61                                    // 00000000E664: 80523D52
	v_mul_lo_u32 v7, v4, s82                                   // 00000000E668: D2850007 0000A504
	v_add_u32_e32 v71, v6, v7                                  // 00000000E670: 688E0F06
	v_and_b32_e32 v4, 31, v0                                   // 00000000E674: 2608009F
	v_lshrrev_b32_e32 v4, 1, v4                                // 00000000E678: 20080881
	s_cmp_eq_u32 s88, 0                                        // 00000000E67C: BF068058
	s_cselect_b32 s61, 2, 4                                    // 00000000E680: 853D8482
	v_mul_lo_u32 v4, v4, s61                                   // 00000000E684: D2850004 00007B04
	v_and_b32_e64 v5, v0, 1                                    // 00000000E68C: D1130005 00010300
	v_add_u32_e32 v4, v4, v5                                   // 00000000E694: 68080B04
	v_lshlrev_b32_e32 v4, 2, v4                                // 00000000E698: 24080882
	v_add_u32_e32 v58, v58, v4                                 // 00000000E69C: 6874093A
	v_add_u32_e32 v59, v59, v4                                 // 00000000E6A0: 6876093B
	v_add_u32_e32 v60, v60, v4                                 // 00000000E6A4: 6878093C
	v_add_u32_e32 v61, v61, v4                                 // 00000000E6A8: 687A093D
	v_add_u32_e32 v62, v62, v4                                 // 00000000E6AC: 687C093E
	v_add_u32_e32 v63, v63, v4                                 // 00000000E6B0: 687E093F
	v_add_u32_e32 v64, v64, v4                                 // 00000000E6B4: 68800940
	v_add_u32_e32 v65, v65, v4                                 // 00000000E6B8: 68820941
	v_add_u32_e32 v66, v66, v4                                 // 00000000E6BC: 68840942
	v_add_u32_e32 v67, v67, v4                                 // 00000000E6C0: 68860943
	v_add_u32_e32 v68, v68, v4                                 // 00000000E6C4: 68880944
	v_add_u32_e32 v69, v69, v4                                 // 00000000E6C8: 688A0945
	v_add_u32_e32 v70, v70, v4                                 // 00000000E6CC: 688C0946
	v_add_u32_e32 v71, v71, v4                                 // 00000000E6D0: 688E0947
	s_waitcnt lgkmcnt(0)                                       // 00000000E6D4: BF8CC07F
	s_barrier                                                  // 00000000E6D8: BF8A0000
	ds_read_b32 v76, v21                                       // 00000000E6DC: D86C0000 4C000015
	ds_read_b32 v77, v21 offset:64                             // 00000000E6E4: D86C0040 4D000015
	ds_read_b32 v80, v21 offset:2176                           // 00000000E6EC: D86C0880 50000015
	ds_read_b32 v81, v21 offset:2240                           // 00000000E6F4: D86C08C0 51000015
	ds_read_b32 v84, v21 offset:4352                           // 00000000E6FC: D86C1100 54000015
	ds_read_b32 v85, v21 offset:4416                           // 00000000E704: D86C1140 55000015
	ds_read_b32 v88, v21 offset:6528                           // 00000000E70C: D86C1980 58000015
	ds_read_b32 v89, v21 offset:6592                           // 00000000E714: D86C19C0 59000015
	ds_read_b32 v92, v21 offset:8704                           // 00000000E71C: D86C2200 5C000015
	ds_read_b32 v93, v21 offset:8768                           // 00000000E724: D86C2240 5D000015
	ds_read_b32 v96, v21 offset:10880                          // 00000000E72C: D86C2A80 60000015
	ds_read_b32 v97, v21 offset:10944                          // 00000000E734: D86C2AC0 61000015
	ds_read_b32 v100, v21 offset:13056                         // 00000000E73C: D86C3300 64000015
	ds_read_b32 v101, v21 offset:13120                         // 00000000E744: D86C3340 65000015
	ds_read_b32 v104, v21 offset:15232                         // 00000000E74C: D86C3B80 68000015
	ds_read_b32 v105, v21 offset:15296                         // 00000000E754: D86C3BC0 69000015
	ds_read_b32 v108, v21 offset:17408                         // 00000000E75C: D86C4400 6C000015
	ds_read_b32 v109, v21 offset:17472                         // 00000000E764: D86C4440 6D000015
	ds_read_b32 v112, v21 offset:19584                         // 00000000E76C: D86C4C80 70000015
	ds_read_b32 v113, v21 offset:19648                         // 00000000E774: D86C4CC0 71000015
	ds_read_b32 v116, v21 offset:21760                         // 00000000E77C: D86C5500 74000015
	ds_read_b32 v117, v21 offset:21824                         // 00000000E784: D86C5540 75000015
	ds_read_b32 v120, v21 offset:23936                         // 00000000E78C: D86C5D80 78000015
	ds_read_b32 v121, v21 offset:24000                         // 00000000E794: D86C5DC0 79000015
	ds_read_b32 v124, v21 offset:26112                         // 00000000E79C: D86C6600 7C000015
	ds_read_b32 v125, v21 offset:26176                         // 00000000E7A4: D86C6640 7D000015
	ds_read_b32 v128, v21 offset:28288                         // 00000000E7AC: D86C6E80 80000015
	ds_read_b32 v129, v21 offset:28352                         // 00000000E7B4: D86C6EC0 81000015
	s_waitcnt lgkmcnt(0)                                       // 00000000E7BC: BF8CC07F
	s_mov_b32 s36, -1                                          // 00000000E7C0: BEA400C1
	s_mov_b32 s37, -1                                          // 00000000E7C4: BEA500C1
	v_mov_b32_e32 v7, 0                                        // 00000000E7C8: 7E0E0280
	s_mov_b64 exec, s[36:37]                                   // 00000000E7CC: BEFE0124
	v_mov_b32_e32 v6, v58                                      // 00000000E7D0: 7E0C033A
	s_mov_b64 s[60:61], 0                                      // 00000000E7D4: BEBC0180
	v_readlane_b32 s82, v3, 0                                  // 00000000E7D8: D2890052 00010103
	s_and_b32 s82, s82, 0xffffff                               // 00000000E7E0: 8652FF52 00FFFFFF
	s_cmp_lt_u32 s82, s66                                      // 00000000E7E8: BF0A4252
	s_cselect_b32 s20, s36, s60                                // 00000000E7EC: 85143C24
	v_readlane_b32 s82, v3, 1                                  // 00000000E7F0: D2890052 00010303
	s_and_b32 s82, s82, 0xffffff                               // 00000000E7F8: 8652FF52 00FFFFFF
	s_cmp_lt_u32 s82, s66                                      // 00000000E800: BF0A4252
	s_cselect_b32 s21, s36, s60                                // 00000000E804: 85153C24
	s_mov_b64 exec, s[20:21]                                   // 00000000E808: BEFE0114
	global_atomic_add_f32 v6, v76, s[8:9]                      // 00000000E80C: DD348000 00084C06
	global_atomic_add_f32 v6, v80, s[8:9] offset:256           // 00000000E814: DD348100 00085006
	s_mov_b64 exec, s[36:37]                                   // 00000000E81C: BEFE0124
	v_mov_b32_e32 v6, v59                                      // 00000000E820: 7E0C033B
	s_mov_b64 s[60:61], 0                                      // 00000000E824: BEBC0180
	v_readlane_b32 s82, v3, 2                                  // 00000000E828: D2890052 00010503
	s_and_b32 s82, s82, 0xffffff                               // 00000000E830: 8652FF52 00FFFFFF
	s_cmp_lt_u32 s82, s66                                      // 00000000E838: BF0A4252
	s_cselect_b32 s20, s36, s60                                // 00000000E83C: 85143C24
	v_readlane_b32 s82, v3, 3                                  // 00000000E840: D2890052 00010703
	s_and_b32 s82, s82, 0xffffff                               // 00000000E848: 8652FF52 00FFFFFF
	s_cmp_lt_u32 s82, s66                                      // 00000000E850: BF0A4252
	s_cselect_b32 s21, s36, s60                                // 00000000E854: 85153C24
	s_mov_b64 exec, s[20:21]                                   // 00000000E858: BEFE0114
	global_atomic_add_f32 v6, v77, s[8:9]                      // 00000000E85C: DD348000 00084D06
	global_atomic_add_f32 v6, v81, s[8:9] offset:256           // 00000000E864: DD348100 00085106
	s_mov_b64 exec, s[36:37]                                   // 00000000E86C: BEFE0124
	v_mov_b32_e32 v6, v60                                      // 00000000E870: 7E0C033C
	s_mov_b64 s[60:61], 0                                      // 00000000E874: BEBC0180
	v_readlane_b32 s82, v3, 4                                  // 00000000E878: D2890052 00010903
	s_and_b32 s82, s82, 0xffffff                               // 00000000E880: 8652FF52 00FFFFFF
	s_cmp_lt_u32 s82, s66                                      // 00000000E888: BF0A4252
	s_cselect_b32 s20, s36, s60                                // 00000000E88C: 85143C24
	v_readlane_b32 s82, v3, 5                                  // 00000000E890: D2890052 00010B03
	s_and_b32 s82, s82, 0xffffff                               // 00000000E898: 8652FF52 00FFFFFF
	s_cmp_lt_u32 s82, s66                                      // 00000000E8A0: BF0A4252
	s_cselect_b32 s21, s36, s60                                // 00000000E8A4: 85153C24
	s_mov_b64 exec, s[20:21]                                   // 00000000E8A8: BEFE0114
	global_atomic_add_f32 v6, v84, s[8:9]                      // 00000000E8AC: DD348000 00085406
	global_atomic_add_f32 v6, v88, s[8:9] offset:256           // 00000000E8B4: DD348100 00085806
	s_mov_b64 exec, s[36:37]                                   // 00000000E8BC: BEFE0124
	v_mov_b32_e32 v6, v61                                      // 00000000E8C0: 7E0C033D
	s_mov_b64 s[60:61], 0                                      // 00000000E8C4: BEBC0180
	v_readlane_b32 s82, v3, 6                                  // 00000000E8C8: D2890052 00010D03
	s_and_b32 s82, s82, 0xffffff                               // 00000000E8D0: 8652FF52 00FFFFFF
	s_cmp_lt_u32 s82, s66                                      // 00000000E8D8: BF0A4252
	s_cselect_b32 s20, s36, s60                                // 00000000E8DC: 85143C24
	v_readlane_b32 s82, v3, 7                                  // 00000000E8E0: D2890052 00010F03
	s_and_b32 s82, s82, 0xffffff                               // 00000000E8E8: 8652FF52 00FFFFFF
	s_cmp_lt_u32 s82, s66                                      // 00000000E8F0: BF0A4252
	s_cselect_b32 s21, s36, s60                                // 00000000E8F4: 85153C24
	s_mov_b64 exec, s[20:21]                                   // 00000000E8F8: BEFE0114
	global_atomic_add_f32 v6, v85, s[8:9]                      // 00000000E8FC: DD348000 00085506
	global_atomic_add_f32 v6, v89, s[8:9] offset:256           // 00000000E904: DD348100 00085906
	s_mov_b64 exec, s[36:37]                                   // 00000000E90C: BEFE0124
	v_mov_b32_e32 v6, v62                                      // 00000000E910: 7E0C033E
	s_mov_b64 s[60:61], 0                                      // 00000000E914: BEBC0180
	v_readlane_b32 s82, v3, 8                                  // 00000000E918: D2890052 00011103
	s_and_b32 s82, s82, 0xffffff                               // 00000000E920: 8652FF52 00FFFFFF
	s_cmp_lt_u32 s82, s66                                      // 00000000E928: BF0A4252
	s_cselect_b32 s20, s36, s60                                // 00000000E92C: 85143C24
	v_readlane_b32 s82, v3, 9                                  // 00000000E930: D2890052 00011303
	s_and_b32 s82, s82, 0xffffff                               // 00000000E938: 8652FF52 00FFFFFF
	s_cmp_lt_u32 s82, s66                                      // 00000000E940: BF0A4252
	s_cselect_b32 s21, s36, s60                                // 00000000E944: 85153C24
	s_mov_b64 exec, s[20:21]                                   // 00000000E948: BEFE0114
	global_atomic_add_f32 v6, v92, s[8:9]                      // 00000000E94C: DD348000 00085C06
	global_atomic_add_f32 v6, v96, s[8:9] offset:256           // 00000000E954: DD348100 00086006
	s_mov_b64 exec, s[36:37]                                   // 00000000E95C: BEFE0124
	v_mov_b32_e32 v6, v63                                      // 00000000E960: 7E0C033F
	s_mov_b64 s[60:61], 0                                      // 00000000E964: BEBC0180
	v_readlane_b32 s82, v3, 10                                 // 00000000E968: D2890052 00011503
	s_and_b32 s82, s82, 0xffffff                               // 00000000E970: 8652FF52 00FFFFFF
	s_cmp_lt_u32 s82, s66                                      // 00000000E978: BF0A4252
	s_cselect_b32 s20, s36, s60                                // 00000000E97C: 85143C24
	v_readlane_b32 s82, v3, 11                                 // 00000000E980: D2890052 00011703
	s_and_b32 s82, s82, 0xffffff                               // 00000000E988: 8652FF52 00FFFFFF
	s_cmp_lt_u32 s82, s66                                      // 00000000E990: BF0A4252
	s_cselect_b32 s21, s36, s60                                // 00000000E994: 85153C24
	s_mov_b64 exec, s[20:21]                                   // 00000000E998: BEFE0114
	global_atomic_add_f32 v6, v93, s[8:9]                      // 00000000E99C: DD348000 00085D06
	global_atomic_add_f32 v6, v97, s[8:9] offset:256           // 00000000E9A4: DD348100 00086106
	s_mov_b64 exec, s[36:37]                                   // 00000000E9AC: BEFE0124
	v_mov_b32_e32 v6, v64                                      // 00000000E9B0: 7E0C0340
	s_mov_b64 s[60:61], 0                                      // 00000000E9B4: BEBC0180
	v_readlane_b32 s82, v3, 12                                 // 00000000E9B8: D2890052 00011903
	s_and_b32 s82, s82, 0xffffff                               // 00000000E9C0: 8652FF52 00FFFFFF
	s_cmp_lt_u32 s82, s66                                      // 00000000E9C8: BF0A4252
	s_cselect_b32 s20, s36, s60                                // 00000000E9CC: 85143C24
	v_readlane_b32 s82, v3, 13                                 // 00000000E9D0: D2890052 00011B03
	s_and_b32 s82, s82, 0xffffff                               // 00000000E9D8: 8652FF52 00FFFFFF
	s_cmp_lt_u32 s82, s66                                      // 00000000E9E0: BF0A4252
	s_cselect_b32 s21, s36, s60                                // 00000000E9E4: 85153C24
	s_mov_b64 exec, s[20:21]                                   // 00000000E9E8: BEFE0114
	global_atomic_add_f32 v6, v100, s[8:9]                     // 00000000E9EC: DD348000 00086406
	global_atomic_add_f32 v6, v104, s[8:9] offset:256          // 00000000E9F4: DD348100 00086806
	s_mov_b64 exec, s[36:37]                                   // 00000000E9FC: BEFE0124
	v_mov_b32_e32 v6, v65                                      // 00000000EA00: 7E0C0341
	s_mov_b64 s[60:61], 0                                      // 00000000EA04: BEBC0180
	v_readlane_b32 s82, v3, 14                                 // 00000000EA08: D2890052 00011D03
	s_and_b32 s82, s82, 0xffffff                               // 00000000EA10: 8652FF52 00FFFFFF
	s_cmp_lt_u32 s82, s66                                      // 00000000EA18: BF0A4252
	s_cselect_b32 s20, s36, s60                                // 00000000EA1C: 85143C24
	v_readlane_b32 s82, v3, 15                                 // 00000000EA20: D2890052 00011F03
	s_and_b32 s82, s82, 0xffffff                               // 00000000EA28: 8652FF52 00FFFFFF
	s_cmp_lt_u32 s82, s66                                      // 00000000EA30: BF0A4252
	s_cselect_b32 s21, s36, s60                                // 00000000EA34: 85153C24
	s_mov_b64 exec, s[20:21]                                   // 00000000EA38: BEFE0114
	global_atomic_add_f32 v6, v101, s[8:9]                     // 00000000EA3C: DD348000 00086506
	global_atomic_add_f32 v6, v105, s[8:9] offset:256          // 00000000EA44: DD348100 00086906
	s_mov_b64 exec, s[36:37]                                   // 00000000EA4C: BEFE0124
	v_mov_b32_e32 v6, v66                                      // 00000000EA50: 7E0C0342
	s_mov_b64 s[60:61], 0                                      // 00000000EA54: BEBC0180
	v_readlane_b32 s82, v3, 16                                 // 00000000EA58: D2890052 00012103
	s_and_b32 s82, s82, 0xffffff                               // 00000000EA60: 8652FF52 00FFFFFF
	s_cmp_lt_u32 s82, s66                                      // 00000000EA68: BF0A4252
	s_cselect_b32 s20, s36, s60                                // 00000000EA6C: 85143C24
	v_readlane_b32 s82, v3, 17                                 // 00000000EA70: D2890052 00012303
	s_and_b32 s82, s82, 0xffffff                               // 00000000EA78: 8652FF52 00FFFFFF
	s_cmp_lt_u32 s82, s66                                      // 00000000EA80: BF0A4252
	s_cselect_b32 s21, s36, s60                                // 00000000EA84: 85153C24
	s_mov_b64 exec, s[20:21]                                   // 00000000EA88: BEFE0114
	global_atomic_add_f32 v6, v108, s[8:9]                     // 00000000EA8C: DD348000 00086C06
	global_atomic_add_f32 v6, v112, s[8:9] offset:256          // 00000000EA94: DD348100 00087006
	s_mov_b64 exec, s[36:37]                                   // 00000000EA9C: BEFE0124
	v_mov_b32_e32 v6, v67                                      // 00000000EAA0: 7E0C0343
	s_mov_b64 s[60:61], 0                                      // 00000000EAA4: BEBC0180
	v_readlane_b32 s82, v3, 18                                 // 00000000EAA8: D2890052 00012503
	s_and_b32 s82, s82, 0xffffff                               // 00000000EAB0: 8652FF52 00FFFFFF
	s_cmp_lt_u32 s82, s66                                      // 00000000EAB8: BF0A4252
	s_cselect_b32 s20, s36, s60                                // 00000000EABC: 85143C24
	v_readlane_b32 s82, v3, 19                                 // 00000000EAC0: D2890052 00012703
	s_and_b32 s82, s82, 0xffffff                               // 00000000EAC8: 8652FF52 00FFFFFF
	s_cmp_lt_u32 s82, s66                                      // 00000000EAD0: BF0A4252
	s_cselect_b32 s21, s36, s60                                // 00000000EAD4: 85153C24
	s_mov_b64 exec, s[20:21]                                   // 00000000EAD8: BEFE0114
	global_atomic_add_f32 v6, v109, s[8:9]                     // 00000000EADC: DD348000 00086D06
	global_atomic_add_f32 v6, v113, s[8:9] offset:256          // 00000000EAE4: DD348100 00087106
	s_mov_b64 exec, s[36:37]                                   // 00000000EAEC: BEFE0124
	v_mov_b32_e32 v6, v68                                      // 00000000EAF0: 7E0C0344
	s_mov_b64 s[60:61], 0                                      // 00000000EAF4: BEBC0180
	v_readlane_b32 s82, v3, 20                                 // 00000000EAF8: D2890052 00012903
	s_and_b32 s82, s82, 0xffffff                               // 00000000EB00: 8652FF52 00FFFFFF
	s_cmp_lt_u32 s82, s66                                      // 00000000EB08: BF0A4252
	s_cselect_b32 s20, s36, s60                                // 00000000EB0C: 85143C24
	v_readlane_b32 s82, v3, 21                                 // 00000000EB10: D2890052 00012B03
	s_and_b32 s82, s82, 0xffffff                               // 00000000EB18: 8652FF52 00FFFFFF
	s_cmp_lt_u32 s82, s66                                      // 00000000EB20: BF0A4252
	s_cselect_b32 s21, s36, s60                                // 00000000EB24: 85153C24
	s_mov_b64 exec, s[20:21]                                   // 00000000EB28: BEFE0114
	global_atomic_add_f32 v6, v116, s[8:9]                     // 00000000EB2C: DD348000 00087406
	global_atomic_add_f32 v6, v120, s[8:9] offset:256          // 00000000EB34: DD348100 00087806
	s_mov_b64 exec, s[36:37]                                   // 00000000EB3C: BEFE0124
	v_mov_b32_e32 v6, v69                                      // 00000000EB40: 7E0C0345
	s_mov_b64 s[60:61], 0                                      // 00000000EB44: BEBC0180
	v_readlane_b32 s82, v3, 22                                 // 00000000EB48: D2890052 00012D03
	s_and_b32 s82, s82, 0xffffff                               // 00000000EB50: 8652FF52 00FFFFFF
	s_cmp_lt_u32 s82, s66                                      // 00000000EB58: BF0A4252
	s_cselect_b32 s20, s36, s60                                // 00000000EB5C: 85143C24
	v_readlane_b32 s82, v3, 23                                 // 00000000EB60: D2890052 00012F03
	s_and_b32 s82, s82, 0xffffff                               // 00000000EB68: 8652FF52 00FFFFFF
	s_cmp_lt_u32 s82, s66                                      // 00000000EB70: BF0A4252
	s_cselect_b32 s21, s36, s60                                // 00000000EB74: 85153C24
	s_mov_b64 exec, s[20:21]                                   // 00000000EB78: BEFE0114
	global_atomic_add_f32 v6, v117, s[8:9]                     // 00000000EB7C: DD348000 00087506
	global_atomic_add_f32 v6, v121, s[8:9] offset:256          // 00000000EB84: DD348100 00087906
	s_mov_b64 exec, s[36:37]                                   // 00000000EB8C: BEFE0124
	v_mov_b32_e32 v6, v70                                      // 00000000EB90: 7E0C0346
	s_mov_b64 s[60:61], 0                                      // 00000000EB94: BEBC0180
	v_readlane_b32 s82, v3, 24                                 // 00000000EB98: D2890052 00013103
	s_and_b32 s82, s82, 0xffffff                               // 00000000EBA0: 8652FF52 00FFFFFF
	s_cmp_lt_u32 s82, s66                                      // 00000000EBA8: BF0A4252
	s_cselect_b32 s20, s36, s60                                // 00000000EBAC: 85143C24
	v_readlane_b32 s82, v3, 25                                 // 00000000EBB0: D2890052 00013303
	s_and_b32 s82, s82, 0xffffff                               // 00000000EBB8: 8652FF52 00FFFFFF
	s_cmp_lt_u32 s82, s66                                      // 00000000EBC0: BF0A4252
	s_cselect_b32 s21, s36, s60                                // 00000000EBC4: 85153C24
	s_mov_b64 exec, s[20:21]                                   // 00000000EBC8: BEFE0114
	global_atomic_add_f32 v6, v124, s[8:9]                     // 00000000EBCC: DD348000 00087C06
	global_atomic_add_f32 v6, v128, s[8:9] offset:256          // 00000000EBD4: DD348100 00088006
	s_mov_b64 exec, s[36:37]                                   // 00000000EBDC: BEFE0124
	v_mov_b32_e32 v6, v71                                      // 00000000EBE0: 7E0C0347
	s_mov_b64 s[60:61], 0                                      // 00000000EBE4: BEBC0180
	v_readlane_b32 s82, v3, 26                                 // 00000000EBE8: D2890052 00013503
	s_and_b32 s82, s82, 0xffffff                               // 00000000EBF0: 8652FF52 00FFFFFF
	s_cmp_lt_u32 s82, s66                                      // 00000000EBF8: BF0A4252
	s_cselect_b32 s20, s36, s60                                // 00000000EBFC: 85143C24
	v_readlane_b32 s82, v3, 27                                 // 00000000EC00: D2890052 00013703
	s_and_b32 s82, s82, 0xffffff                               // 00000000EC08: 8652FF52 00FFFFFF
	s_cmp_lt_u32 s82, s66                                      // 00000000EC10: BF0A4252
	s_cselect_b32 s21, s36, s60                                // 00000000EC14: 85153C24
	s_mov_b64 exec, s[20:21]                                   // 00000000EC18: BEFE0114
	global_atomic_add_f32 v6, v125, s[8:9]                     // 00000000EC1C: DD348000 00087D06
	global_atomic_add_f32 v6, v129, s[8:9] offset:256          // 00000000EC24: DD348100 00088106
	s_mov_b64 exec, s[36:37]                                   // 00000000EC2C: BEFE0124
	ds_write_b64 v20, v[78:79]                                 // 00000000EC30: D89A0000 00004E14
	ds_write_b64 v20, v[82:83] offset:4352                     // 00000000EC38: D89A1100 00005214
	ds_write_b64 v20, v[86:87] offset:8704                     // 00000000EC40: D89A2200 00005614
	ds_write_b64 v20, v[90:91] offset:13056                    // 00000000EC48: D89A3300 00005A14
	ds_write_b64 v20, v[94:95] offset:17408                    // 00000000EC50: D89A4400 00005E14
	ds_write_b64 v20, v[98:99] offset:21760                    // 00000000EC58: D89A5500 00006214
	ds_write_b64 v20, v[102:103] offset:26112                  // 00000000EC60: D89A6600 00006614
	ds_write_b64 v20, v[106:107] offset:2176                   // 00000000EC68: D89A0880 00006A14
	ds_write_b64 v20, v[110:111] offset:6528                   // 00000000EC70: D89A1980 00006E14
	ds_write_b64 v20, v[114:115] offset:10880                  // 00000000EC78: D89A2A80 00007214
	ds_write_b64 v20, v[118:119] offset:15232                  // 00000000EC80: D89A3B80 00007614
	ds_write_b64 v20, v[122:123] offset:19584                  // 00000000EC88: D89A4C80 00007A14
	ds_write_b64 v20, v[126:127] offset:23936                  // 00000000EC90: D89A5D80 00007E14
	ds_write_b64 v20, v[130:131] offset:28288                  // 00000000EC98: D89A6E80 00008214
	s_waitcnt lgkmcnt(0)                                       // 00000000ECA0: BF8CC07F
	s_barrier                                                  // 00000000ECA4: BF8A0000
	ds_read_b32 v78, v21                                       // 00000000ECA8: D86C0000 4E000015
	ds_read_b32 v79, v21 offset:64                             // 00000000ECB0: D86C0040 4F000015
	ds_read_b32 v82, v21 offset:2176                           // 00000000ECB8: D86C0880 52000015
	ds_read_b32 v83, v21 offset:2240                           // 00000000ECC0: D86C08C0 53000015
	ds_read_b32 v86, v21 offset:4352                           // 00000000ECC8: D86C1100 56000015
	ds_read_b32 v87, v21 offset:4416                           // 00000000ECD0: D86C1140 57000015
	ds_read_b32 v90, v21 offset:6528                           // 00000000ECD8: D86C1980 5A000015
	ds_read_b32 v91, v21 offset:6592                           // 00000000ECE0: D86C19C0 5B000015
	ds_read_b32 v94, v21 offset:8704                           // 00000000ECE8: D86C2200 5E000015
	ds_read_b32 v95, v21 offset:8768                           // 00000000ECF0: D86C2240 5F000015
	ds_read_b32 v98, v21 offset:10880                          // 00000000ECF8: D86C2A80 62000015
	ds_read_b32 v99, v21 offset:10944                          // 00000000ED00: D86C2AC0 63000015
	ds_read_b32 v102, v21 offset:13056                         // 00000000ED08: D86C3300 66000015
	ds_read_b32 v103, v21 offset:13120                         // 00000000ED10: D86C3340 67000015
	ds_read_b32 v106, v21 offset:15232                         // 00000000ED18: D86C3B80 6A000015
	ds_read_b32 v107, v21 offset:15296                         // 00000000ED20: D86C3BC0 6B000015
	ds_read_b32 v110, v21 offset:17408                         // 00000000ED28: D86C4400 6E000015
	ds_read_b32 v111, v21 offset:17472                         // 00000000ED30: D86C4440 6F000015
	ds_read_b32 v114, v21 offset:19584                         // 00000000ED38: D86C4C80 72000015
	ds_read_b32 v115, v21 offset:19648                         // 00000000ED40: D86C4CC0 73000015
	ds_read_b32 v118, v21 offset:21760                         // 00000000ED48: D86C5500 76000015
	ds_read_b32 v119, v21 offset:21824                         // 00000000ED50: D86C5540 77000015
	ds_read_b32 v122, v21 offset:23936                         // 00000000ED58: D86C5D80 7A000015
	ds_read_b32 v123, v21 offset:24000                         // 00000000ED60: D86C5DC0 7B000015
	ds_read_b32 v126, v21 offset:26112                         // 00000000ED68: D86C6600 7E000015
	ds_read_b32 v127, v21 offset:26176                         // 00000000ED70: D86C6640 7F000015
	ds_read_b32 v130, v21 offset:28288                         // 00000000ED78: D86C6E80 82000015
	ds_read_b32 v131, v21 offset:28352                         // 00000000ED80: D86C6EC0 83000015
	s_waitcnt lgkmcnt(0)                                       // 00000000ED88: BF8CC07F
	v_mov_b32_e32 v7, 0                                        // 00000000ED8C: 7E0E0280
	s_mov_b64 exec, s[36:37]                                   // 00000000ED90: BEFE0124
	v_mov_b32_e32 v6, v58                                      // 00000000ED94: 7E0C033A
	s_mov_b64 s[60:61], 0                                      // 00000000ED98: BEBC0180
	v_readlane_b32 s82, v3, 0                                  // 00000000ED9C: D2890052 00010103
	s_and_b32 s82, s82, 0xffffff                               // 00000000EDA4: 8652FF52 00FFFFFF
	s_cmp_lt_u32 s82, s66                                      // 00000000EDAC: BF0A4252
	s_cselect_b32 s20, s36, s60                                // 00000000EDB0: 85143C24
	v_readlane_b32 s82, v3, 1                                  // 00000000EDB4: D2890052 00010303
	s_and_b32 s82, s82, 0xffffff                               // 00000000EDBC: 8652FF52 00FFFFFF
	s_cmp_lt_u32 s82, s66                                      // 00000000EDC4: BF0A4252
	s_cselect_b32 s21, s36, s60                                // 00000000EDC8: 85153C24
	s_mov_b64 exec, s[20:21]                                   // 00000000EDCC: BEFE0114
	global_atomic_add_f32 v6, v78, s[8:9] offset:8             // 00000000EDD0: DD348008 00084E06
	global_atomic_add_f32 v6, v82, s[8:9] offset:264           // 00000000EDD8: DD348108 00085206
	s_mov_b64 exec, s[36:37]                                   // 00000000EDE0: BEFE0124
	v_mov_b32_e32 v6, v59                                      // 00000000EDE4: 7E0C033B
	s_mov_b64 s[60:61], 0                                      // 00000000EDE8: BEBC0180
	v_readlane_b32 s82, v3, 2                                  // 00000000EDEC: D2890052 00010503
	s_and_b32 s82, s82, 0xffffff                               // 00000000EDF4: 8652FF52 00FFFFFF
	s_cmp_lt_u32 s82, s66                                      // 00000000EDFC: BF0A4252
	s_cselect_b32 s20, s36, s60                                // 00000000EE00: 85143C24
	v_readlane_b32 s82, v3, 3                                  // 00000000EE04: D2890052 00010703
	s_and_b32 s82, s82, 0xffffff                               // 00000000EE0C: 8652FF52 00FFFFFF
	s_cmp_lt_u32 s82, s66                                      // 00000000EE14: BF0A4252
	s_cselect_b32 s21, s36, s60                                // 00000000EE18: 85153C24
	s_mov_b64 exec, s[20:21]                                   // 00000000EE1C: BEFE0114
	global_atomic_add_f32 v6, v79, s[8:9] offset:8             // 00000000EE20: DD348008 00084F06
	global_atomic_add_f32 v6, v83, s[8:9] offset:264           // 00000000EE28: DD348108 00085306
	s_mov_b64 exec, s[36:37]                                   // 00000000EE30: BEFE0124
	v_mov_b32_e32 v6, v60                                      // 00000000EE34: 7E0C033C
	s_mov_b64 s[60:61], 0                                      // 00000000EE38: BEBC0180
	v_readlane_b32 s82, v3, 4                                  // 00000000EE3C: D2890052 00010903
	s_and_b32 s82, s82, 0xffffff                               // 00000000EE44: 8652FF52 00FFFFFF
	s_cmp_lt_u32 s82, s66                                      // 00000000EE4C: BF0A4252
	s_cselect_b32 s20, s36, s60                                // 00000000EE50: 85143C24
	v_readlane_b32 s82, v3, 5                                  // 00000000EE54: D2890052 00010B03
	s_and_b32 s82, s82, 0xffffff                               // 00000000EE5C: 8652FF52 00FFFFFF
	s_cmp_lt_u32 s82, s66                                      // 00000000EE64: BF0A4252
	s_cselect_b32 s21, s36, s60                                // 00000000EE68: 85153C24
	s_mov_b64 exec, s[20:21]                                   // 00000000EE6C: BEFE0114
	global_atomic_add_f32 v6, v86, s[8:9] offset:8             // 00000000EE70: DD348008 00085606
	global_atomic_add_f32 v6, v90, s[8:9] offset:264           // 00000000EE78: DD348108 00085A06
	s_mov_b64 exec, s[36:37]                                   // 00000000EE80: BEFE0124
	v_mov_b32_e32 v6, v61                                      // 00000000EE84: 7E0C033D
	s_mov_b64 s[60:61], 0                                      // 00000000EE88: BEBC0180
	v_readlane_b32 s82, v3, 6                                  // 00000000EE8C: D2890052 00010D03
	s_and_b32 s82, s82, 0xffffff                               // 00000000EE94: 8652FF52 00FFFFFF
	s_cmp_lt_u32 s82, s66                                      // 00000000EE9C: BF0A4252
	s_cselect_b32 s20, s36, s60                                // 00000000EEA0: 85143C24
	v_readlane_b32 s82, v3, 7                                  // 00000000EEA4: D2890052 00010F03
	s_and_b32 s82, s82, 0xffffff                               // 00000000EEAC: 8652FF52 00FFFFFF
	s_cmp_lt_u32 s82, s66                                      // 00000000EEB4: BF0A4252
	s_cselect_b32 s21, s36, s60                                // 00000000EEB8: 85153C24
	s_mov_b64 exec, s[20:21]                                   // 00000000EEBC: BEFE0114
	global_atomic_add_f32 v6, v87, s[8:9] offset:8             // 00000000EEC0: DD348008 00085706
	global_atomic_add_f32 v6, v91, s[8:9] offset:264           // 00000000EEC8: DD348108 00085B06
	s_mov_b64 exec, s[36:37]                                   // 00000000EED0: BEFE0124
	v_mov_b32_e32 v6, v62                                      // 00000000EED4: 7E0C033E
	s_mov_b64 s[60:61], 0                                      // 00000000EED8: BEBC0180
	v_readlane_b32 s82, v3, 8                                  // 00000000EEDC: D2890052 00011103
	s_and_b32 s82, s82, 0xffffff                               // 00000000EEE4: 8652FF52 00FFFFFF
	s_cmp_lt_u32 s82, s66                                      // 00000000EEEC: BF0A4252
	s_cselect_b32 s20, s36, s60                                // 00000000EEF0: 85143C24
	v_readlane_b32 s82, v3, 9                                  // 00000000EEF4: D2890052 00011303
	s_and_b32 s82, s82, 0xffffff                               // 00000000EEFC: 8652FF52 00FFFFFF
	s_cmp_lt_u32 s82, s66                                      // 00000000EF04: BF0A4252
	s_cselect_b32 s21, s36, s60                                // 00000000EF08: 85153C24
	s_mov_b64 exec, s[20:21]                                   // 00000000EF0C: BEFE0114
	global_atomic_add_f32 v6, v94, s[8:9] offset:8             // 00000000EF10: DD348008 00085E06
	global_atomic_add_f32 v6, v98, s[8:9] offset:264           // 00000000EF18: DD348108 00086206
	s_mov_b64 exec, s[36:37]                                   // 00000000EF20: BEFE0124
	v_mov_b32_e32 v6, v63                                      // 00000000EF24: 7E0C033F
	s_mov_b64 s[60:61], 0                                      // 00000000EF28: BEBC0180
	v_readlane_b32 s82, v3, 10                                 // 00000000EF2C: D2890052 00011503
	s_and_b32 s82, s82, 0xffffff                               // 00000000EF34: 8652FF52 00FFFFFF
	s_cmp_lt_u32 s82, s66                                      // 00000000EF3C: BF0A4252
	s_cselect_b32 s20, s36, s60                                // 00000000EF40: 85143C24
	v_readlane_b32 s82, v3, 11                                 // 00000000EF44: D2890052 00011703
	s_and_b32 s82, s82, 0xffffff                               // 00000000EF4C: 8652FF52 00FFFFFF
	s_cmp_lt_u32 s82, s66                                      // 00000000EF54: BF0A4252
	s_cselect_b32 s21, s36, s60                                // 00000000EF58: 85153C24
	s_mov_b64 exec, s[20:21]                                   // 00000000EF5C: BEFE0114
	global_atomic_add_f32 v6, v95, s[8:9] offset:8             // 00000000EF60: DD348008 00085F06
	global_atomic_add_f32 v6, v99, s[8:9] offset:264           // 00000000EF68: DD348108 00086306
	s_mov_b64 exec, s[36:37]                                   // 00000000EF70: BEFE0124
	v_mov_b32_e32 v6, v64                                      // 00000000EF74: 7E0C0340
	s_mov_b64 s[60:61], 0                                      // 00000000EF78: BEBC0180
	v_readlane_b32 s82, v3, 12                                 // 00000000EF7C: D2890052 00011903
	s_and_b32 s82, s82, 0xffffff                               // 00000000EF84: 8652FF52 00FFFFFF
	s_cmp_lt_u32 s82, s66                                      // 00000000EF8C: BF0A4252
	s_cselect_b32 s20, s36, s60                                // 00000000EF90: 85143C24
	v_readlane_b32 s82, v3, 13                                 // 00000000EF94: D2890052 00011B03
	s_and_b32 s82, s82, 0xffffff                               // 00000000EF9C: 8652FF52 00FFFFFF
	s_cmp_lt_u32 s82, s66                                      // 00000000EFA4: BF0A4252
	s_cselect_b32 s21, s36, s60                                // 00000000EFA8: 85153C24
	s_mov_b64 exec, s[20:21]                                   // 00000000EFAC: BEFE0114
	global_atomic_add_f32 v6, v102, s[8:9] offset:8            // 00000000EFB0: DD348008 00086606
	global_atomic_add_f32 v6, v106, s[8:9] offset:264          // 00000000EFB8: DD348108 00086A06
	s_mov_b64 exec, s[36:37]                                   // 00000000EFC0: BEFE0124
	v_mov_b32_e32 v6, v65                                      // 00000000EFC4: 7E0C0341
	s_mov_b64 s[60:61], 0                                      // 00000000EFC8: BEBC0180
	v_readlane_b32 s82, v3, 14                                 // 00000000EFCC: D2890052 00011D03
	s_and_b32 s82, s82, 0xffffff                               // 00000000EFD4: 8652FF52 00FFFFFF
	s_cmp_lt_u32 s82, s66                                      // 00000000EFDC: BF0A4252
	s_cselect_b32 s20, s36, s60                                // 00000000EFE0: 85143C24
	v_readlane_b32 s82, v3, 15                                 // 00000000EFE4: D2890052 00011F03
	s_and_b32 s82, s82, 0xffffff                               // 00000000EFEC: 8652FF52 00FFFFFF
	s_cmp_lt_u32 s82, s66                                      // 00000000EFF4: BF0A4252
	s_cselect_b32 s21, s36, s60                                // 00000000EFF8: 85153C24
	s_mov_b64 exec, s[20:21]                                   // 00000000EFFC: BEFE0114
	global_atomic_add_f32 v6, v103, s[8:9] offset:8            // 00000000F000: DD348008 00086706
	global_atomic_add_f32 v6, v107, s[8:9] offset:264          // 00000000F008: DD348108 00086B06
	s_mov_b64 exec, s[36:37]                                   // 00000000F010: BEFE0124
	v_mov_b32_e32 v6, v66                                      // 00000000F014: 7E0C0342
	s_mov_b64 s[60:61], 0                                      // 00000000F018: BEBC0180
	v_readlane_b32 s82, v3, 16                                 // 00000000F01C: D2890052 00012103
	s_and_b32 s82, s82, 0xffffff                               // 00000000F024: 8652FF52 00FFFFFF
	s_cmp_lt_u32 s82, s66                                      // 00000000F02C: BF0A4252
	s_cselect_b32 s20, s36, s60                                // 00000000F030: 85143C24
	v_readlane_b32 s82, v3, 17                                 // 00000000F034: D2890052 00012303
	s_and_b32 s82, s82, 0xffffff                               // 00000000F03C: 8652FF52 00FFFFFF
	s_cmp_lt_u32 s82, s66                                      // 00000000F044: BF0A4252
	s_cselect_b32 s21, s36, s60                                // 00000000F048: 85153C24
	s_mov_b64 exec, s[20:21]                                   // 00000000F04C: BEFE0114
	global_atomic_add_f32 v6, v110, s[8:9] offset:8            // 00000000F050: DD348008 00086E06
	global_atomic_add_f32 v6, v114, s[8:9] offset:264          // 00000000F058: DD348108 00087206
	s_mov_b64 exec, s[36:37]                                   // 00000000F060: BEFE0124
	v_mov_b32_e32 v6, v67                                      // 00000000F064: 7E0C0343
	s_mov_b64 s[60:61], 0                                      // 00000000F068: BEBC0180
	v_readlane_b32 s82, v3, 18                                 // 00000000F06C: D2890052 00012503
	s_and_b32 s82, s82, 0xffffff                               // 00000000F074: 8652FF52 00FFFFFF
	s_cmp_lt_u32 s82, s66                                      // 00000000F07C: BF0A4252
	s_cselect_b32 s20, s36, s60                                // 00000000F080: 85143C24
	v_readlane_b32 s82, v3, 19                                 // 00000000F084: D2890052 00012703
	s_and_b32 s82, s82, 0xffffff                               // 00000000F08C: 8652FF52 00FFFFFF
	s_cmp_lt_u32 s82, s66                                      // 00000000F094: BF0A4252
	s_cselect_b32 s21, s36, s60                                // 00000000F098: 85153C24
	s_mov_b64 exec, s[20:21]                                   // 00000000F09C: BEFE0114
	global_atomic_add_f32 v6, v111, s[8:9] offset:8            // 00000000F0A0: DD348008 00086F06
	global_atomic_add_f32 v6, v115, s[8:9] offset:264          // 00000000F0A8: DD348108 00087306
	s_mov_b64 exec, s[36:37]                                   // 00000000F0B0: BEFE0124
	v_mov_b32_e32 v6, v68                                      // 00000000F0B4: 7E0C0344
	s_mov_b64 s[60:61], 0                                      // 00000000F0B8: BEBC0180
	v_readlane_b32 s82, v3, 20                                 // 00000000F0BC: D2890052 00012903
	s_and_b32 s82, s82, 0xffffff                               // 00000000F0C4: 8652FF52 00FFFFFF
	s_cmp_lt_u32 s82, s66                                      // 00000000F0CC: BF0A4252
	s_cselect_b32 s20, s36, s60                                // 00000000F0D0: 85143C24
	v_readlane_b32 s82, v3, 21                                 // 00000000F0D4: D2890052 00012B03
	s_and_b32 s82, s82, 0xffffff                               // 00000000F0DC: 8652FF52 00FFFFFF
	s_cmp_lt_u32 s82, s66                                      // 00000000F0E4: BF0A4252
	s_cselect_b32 s21, s36, s60                                // 00000000F0E8: 85153C24
	s_mov_b64 exec, s[20:21]                                   // 00000000F0EC: BEFE0114
	global_atomic_add_f32 v6, v118, s[8:9] offset:8            // 00000000F0F0: DD348008 00087606
	global_atomic_add_f32 v6, v122, s[8:9] offset:264          // 00000000F0F8: DD348108 00087A06
	s_mov_b64 exec, s[36:37]                                   // 00000000F100: BEFE0124
	v_mov_b32_e32 v6, v69                                      // 00000000F104: 7E0C0345
	s_mov_b64 s[60:61], 0                                      // 00000000F108: BEBC0180
	v_readlane_b32 s82, v3, 22                                 // 00000000F10C: D2890052 00012D03
	s_and_b32 s82, s82, 0xffffff                               // 00000000F114: 8652FF52 00FFFFFF
	s_cmp_lt_u32 s82, s66                                      // 00000000F11C: BF0A4252
	s_cselect_b32 s20, s36, s60                                // 00000000F120: 85143C24
	v_readlane_b32 s82, v3, 23                                 // 00000000F124: D2890052 00012F03
	s_and_b32 s82, s82, 0xffffff                               // 00000000F12C: 8652FF52 00FFFFFF
	s_cmp_lt_u32 s82, s66                                      // 00000000F134: BF0A4252
	s_cselect_b32 s21, s36, s60                                // 00000000F138: 85153C24
	s_mov_b64 exec, s[20:21]                                   // 00000000F13C: BEFE0114
	global_atomic_add_f32 v6, v119, s[8:9] offset:8            // 00000000F140: DD348008 00087706
	global_atomic_add_f32 v6, v123, s[8:9] offset:264          // 00000000F148: DD348108 00087B06
	s_mov_b64 exec, s[36:37]                                   // 00000000F150: BEFE0124
	v_mov_b32_e32 v6, v70                                      // 00000000F154: 7E0C0346
	s_mov_b64 s[60:61], 0                                      // 00000000F158: BEBC0180
	v_readlane_b32 s82, v3, 24                                 // 00000000F15C: D2890052 00013103
	s_and_b32 s82, s82, 0xffffff                               // 00000000F164: 8652FF52 00FFFFFF
	s_cmp_lt_u32 s82, s66                                      // 00000000F16C: BF0A4252
	s_cselect_b32 s20, s36, s60                                // 00000000F170: 85143C24
	v_readlane_b32 s82, v3, 25                                 // 00000000F174: D2890052 00013303
	s_and_b32 s82, s82, 0xffffff                               // 00000000F17C: 8652FF52 00FFFFFF
	s_cmp_lt_u32 s82, s66                                      // 00000000F184: BF0A4252
	s_cselect_b32 s21, s36, s60                                // 00000000F188: 85153C24
	s_mov_b64 exec, s[20:21]                                   // 00000000F18C: BEFE0114
	global_atomic_add_f32 v6, v126, s[8:9] offset:8            // 00000000F190: DD348008 00087E06
	global_atomic_add_f32 v6, v130, s[8:9] offset:264          // 00000000F198: DD348108 00088206
	s_mov_b64 exec, s[36:37]                                   // 00000000F1A0: BEFE0124
	v_mov_b32_e32 v6, v71                                      // 00000000F1A4: 7E0C0347
	s_mov_b64 s[60:61], 0                                      // 00000000F1A8: BEBC0180
	v_readlane_b32 s82, v3, 26                                 // 00000000F1AC: D2890052 00013503
	s_and_b32 s82, s82, 0xffffff                               // 00000000F1B4: 8652FF52 00FFFFFF
	s_cmp_lt_u32 s82, s66                                      // 00000000F1BC: BF0A4252
	s_cselect_b32 s20, s36, s60                                // 00000000F1C0: 85143C24
	v_readlane_b32 s82, v3, 27                                 // 00000000F1C4: D2890052 00013703
	s_and_b32 s82, s82, 0xffffff                               // 00000000F1CC: 8652FF52 00FFFFFF
	s_cmp_lt_u32 s82, s66                                      // 00000000F1D4: BF0A4252
	s_cselect_b32 s21, s36, s60                                // 00000000F1D8: 85153C24
	s_mov_b64 exec, s[20:21]                                   // 00000000F1DC: BEFE0114
	global_atomic_add_f32 v6, v127, s[8:9] offset:8            // 00000000F1E0: DD348008 00087F06
	global_atomic_add_f32 v6, v131, s[8:9] offset:264          // 00000000F1E8: DD348108 00088306
	s_mov_b64 exec, s[36:37]                                   // 00000000F1F0: BEFE0124
	ds_write_b64 v20, v[132:133]                               // 00000000F1F4: D89A0000 00008414
	ds_write_b64 v20, v[136:137] offset:4352                   // 00000000F1FC: D89A1100 00008814
	ds_write_b64 v20, v[140:141] offset:8704                   // 00000000F204: D89A2200 00008C14
	ds_write_b64 v20, v[144:145] offset:13056                  // 00000000F20C: D89A3300 00009014
	ds_write_b64 v20, v[148:149] offset:17408                  // 00000000F214: D89A4400 00009414
	ds_write_b64 v20, v[152:153] offset:21760                  // 00000000F21C: D89A5500 00009814
	ds_write_b64 v20, v[156:157] offset:26112                  // 00000000F224: D89A6600 00009C14
	ds_write_b64 v20, v[160:161] offset:2176                   // 00000000F22C: D89A0880 0000A014
	ds_write_b64 v20, v[164:165] offset:6528                   // 00000000F234: D89A1980 0000A414
	ds_write_b64 v20, v[168:169] offset:10880                  // 00000000F23C: D89A2A80 0000A814
	ds_write_b64 v20, v[172:173] offset:15232                  // 00000000F244: D89A3B80 0000AC14
	ds_write_b64 v20, v[176:177] offset:19584                  // 00000000F24C: D89A4C80 0000B014
	ds_write_b64 v20, v[180:181] offset:23936                  // 00000000F254: D89A5D80 0000B414
	ds_write_b64 v20, v[184:185] offset:28288                  // 00000000F25C: D89A6E80 0000B814
	s_waitcnt lgkmcnt(0)                                       // 00000000F264: BF8CC07F
	s_barrier                                                  // 00000000F268: BF8A0000
	ds_read_b32 v132, v21                                      // 00000000F26C: D86C0000 84000015
	ds_read_b32 v133, v21 offset:64                            // 00000000F274: D86C0040 85000015
	ds_read_b32 v136, v21 offset:2176                          // 00000000F27C: D86C0880 88000015
	ds_read_b32 v137, v21 offset:2240                          // 00000000F284: D86C08C0 89000015
	ds_read_b32 v140, v21 offset:4352                          // 00000000F28C: D86C1100 8C000015
	ds_read_b32 v141, v21 offset:4416                          // 00000000F294: D86C1140 8D000015
	ds_read_b32 v144, v21 offset:6528                          // 00000000F29C: D86C1980 90000015
	ds_read_b32 v145, v21 offset:6592                          // 00000000F2A4: D86C19C0 91000015
	ds_read_b32 v148, v21 offset:8704                          // 00000000F2AC: D86C2200 94000015
	ds_read_b32 v149, v21 offset:8768                          // 00000000F2B4: D86C2240 95000015
	ds_read_b32 v152, v21 offset:10880                         // 00000000F2BC: D86C2A80 98000015
	ds_read_b32 v153, v21 offset:10944                         // 00000000F2C4: D86C2AC0 99000015
	ds_read_b32 v156, v21 offset:13056                         // 00000000F2CC: D86C3300 9C000015
	ds_read_b32 v157, v21 offset:13120                         // 00000000F2D4: D86C3340 9D000015
	ds_read_b32 v160, v21 offset:15232                         // 00000000F2DC: D86C3B80 A0000015
	ds_read_b32 v161, v21 offset:15296                         // 00000000F2E4: D86C3BC0 A1000015
	ds_read_b32 v164, v21 offset:17408                         // 00000000F2EC: D86C4400 A4000015
	ds_read_b32 v165, v21 offset:17472                         // 00000000F2F4: D86C4440 A5000015
	ds_read_b32 v168, v21 offset:19584                         // 00000000F2FC: D86C4C80 A8000015
	ds_read_b32 v169, v21 offset:19648                         // 00000000F304: D86C4CC0 A9000015
	ds_read_b32 v172, v21 offset:21760                         // 00000000F30C: D86C5500 AC000015
	ds_read_b32 v173, v21 offset:21824                         // 00000000F314: D86C5540 AD000015
	ds_read_b32 v176, v21 offset:23936                         // 00000000F31C: D86C5D80 B0000015
	ds_read_b32 v177, v21 offset:24000                         // 00000000F324: D86C5DC0 B1000015
	ds_read_b32 v180, v21 offset:26112                         // 00000000F32C: D86C6600 B4000015
	ds_read_b32 v181, v21 offset:26176                         // 00000000F334: D86C6640 B5000015
	ds_read_b32 v184, v21 offset:28288                         // 00000000F33C: D86C6E80 B8000015
	ds_read_b32 v185, v21 offset:28352                         // 00000000F344: D86C6EC0 B9000015
	s_mul_i32 s60, s65, 4                                      // 00000000F34C: 923C8441
	s_add_u32 s8, s60, s8                                      // 00000000F350: 8008083C
	s_addc_u32 s9, 0, s9                                       // 00000000F354: 82090980
	s_waitcnt lgkmcnt(0)                                       // 00000000F358: BF8CC07F
	v_mov_b32_e32 v7, 0                                        // 00000000F35C: 7E0E0280
	s_mov_b64 exec, s[36:37]                                   // 00000000F360: BEFE0124
	v_mov_b32_e32 v6, v58                                      // 00000000F364: 7E0C033A
	s_mov_b64 s[60:61], 0                                      // 00000000F368: BEBC0180
	v_readlane_b32 s82, v3, 0                                  // 00000000F36C: D2890052 00010103
	s_and_b32 s82, s82, 0xffffff                               // 00000000F374: 8652FF52 00FFFFFF
	s_cmp_lt_u32 s82, s66                                      // 00000000F37C: BF0A4252
	s_cselect_b32 s20, s36, s60                                // 00000000F380: 85143C24
	v_readlane_b32 s82, v3, 1                                  // 00000000F384: D2890052 00010303
	s_and_b32 s82, s82, 0xffffff                               // 00000000F38C: 8652FF52 00FFFFFF
	s_cmp_lt_u32 s82, s66                                      // 00000000F394: BF0A4252
	s_cselect_b32 s21, s36, s60                                // 00000000F398: 85153C24
	s_mov_b64 exec, s[20:21]                                   // 00000000F39C: BEFE0114
	global_atomic_add_f32 v6, v132, s[8:9]                     // 00000000F3A0: DD348000 00088406
	global_atomic_add_f32 v6, v136, s[8:9] offset:256          // 00000000F3A8: DD348100 00088806
	s_mov_b64 exec, s[36:37]                                   // 00000000F3B0: BEFE0124
	v_mov_b32_e32 v6, v59                                      // 00000000F3B4: 7E0C033B
	s_mov_b64 s[60:61], 0                                      // 00000000F3B8: BEBC0180
	v_readlane_b32 s82, v3, 2                                  // 00000000F3BC: D2890052 00010503
	s_and_b32 s82, s82, 0xffffff                               // 00000000F3C4: 8652FF52 00FFFFFF
	s_cmp_lt_u32 s82, s66                                      // 00000000F3CC: BF0A4252
	s_cselect_b32 s20, s36, s60                                // 00000000F3D0: 85143C24
	v_readlane_b32 s82, v3, 3                                  // 00000000F3D4: D2890052 00010703
	s_and_b32 s82, s82, 0xffffff                               // 00000000F3DC: 8652FF52 00FFFFFF
	s_cmp_lt_u32 s82, s66                                      // 00000000F3E4: BF0A4252
	s_cselect_b32 s21, s36, s60                                // 00000000F3E8: 85153C24
	s_mov_b64 exec, s[20:21]                                   // 00000000F3EC: BEFE0114
	global_atomic_add_f32 v6, v133, s[8:9]                     // 00000000F3F0: DD348000 00088506
	global_atomic_add_f32 v6, v137, s[8:9] offset:256          // 00000000F3F8: DD348100 00088906
	s_mov_b64 exec, s[36:37]                                   // 00000000F400: BEFE0124
	v_mov_b32_e32 v6, v60                                      // 00000000F404: 7E0C033C
	s_mov_b64 s[60:61], 0                                      // 00000000F408: BEBC0180
	v_readlane_b32 s82, v3, 4                                  // 00000000F40C: D2890052 00010903
	s_and_b32 s82, s82, 0xffffff                               // 00000000F414: 8652FF52 00FFFFFF
	s_cmp_lt_u32 s82, s66                                      // 00000000F41C: BF0A4252
	s_cselect_b32 s20, s36, s60                                // 00000000F420: 85143C24
	v_readlane_b32 s82, v3, 5                                  // 00000000F424: D2890052 00010B03
	s_and_b32 s82, s82, 0xffffff                               // 00000000F42C: 8652FF52 00FFFFFF
	s_cmp_lt_u32 s82, s66                                      // 00000000F434: BF0A4252
	s_cselect_b32 s21, s36, s60                                // 00000000F438: 85153C24
	s_mov_b64 exec, s[20:21]                                   // 00000000F43C: BEFE0114
	global_atomic_add_f32 v6, v140, s[8:9]                     // 00000000F440: DD348000 00088C06
	global_atomic_add_f32 v6, v144, s[8:9] offset:256          // 00000000F448: DD348100 00089006
	s_mov_b64 exec, s[36:37]                                   // 00000000F450: BEFE0124
	v_mov_b32_e32 v6, v61                                      // 00000000F454: 7E0C033D
	s_mov_b64 s[60:61], 0                                      // 00000000F458: BEBC0180
	v_readlane_b32 s82, v3, 6                                  // 00000000F45C: D2890052 00010D03
	s_and_b32 s82, s82, 0xffffff                               // 00000000F464: 8652FF52 00FFFFFF
	s_cmp_lt_u32 s82, s66                                      // 00000000F46C: BF0A4252
	s_cselect_b32 s20, s36, s60                                // 00000000F470: 85143C24
	v_readlane_b32 s82, v3, 7                                  // 00000000F474: D2890052 00010F03
	s_and_b32 s82, s82, 0xffffff                               // 00000000F47C: 8652FF52 00FFFFFF
	s_cmp_lt_u32 s82, s66                                      // 00000000F484: BF0A4252
	s_cselect_b32 s21, s36, s60                                // 00000000F488: 85153C24
	s_mov_b64 exec, s[20:21]                                   // 00000000F48C: BEFE0114
	global_atomic_add_f32 v6, v141, s[8:9]                     // 00000000F490: DD348000 00088D06
	global_atomic_add_f32 v6, v145, s[8:9] offset:256          // 00000000F498: DD348100 00089106
	s_mov_b64 exec, s[36:37]                                   // 00000000F4A0: BEFE0124
	v_mov_b32_e32 v6, v62                                      // 00000000F4A4: 7E0C033E
	s_mov_b64 s[60:61], 0                                      // 00000000F4A8: BEBC0180
	v_readlane_b32 s82, v3, 8                                  // 00000000F4AC: D2890052 00011103
	s_and_b32 s82, s82, 0xffffff                               // 00000000F4B4: 8652FF52 00FFFFFF
	s_cmp_lt_u32 s82, s66                                      // 00000000F4BC: BF0A4252
	s_cselect_b32 s20, s36, s60                                // 00000000F4C0: 85143C24
	v_readlane_b32 s82, v3, 9                                  // 00000000F4C4: D2890052 00011303
	s_and_b32 s82, s82, 0xffffff                               // 00000000F4CC: 8652FF52 00FFFFFF
	s_cmp_lt_u32 s82, s66                                      // 00000000F4D4: BF0A4252
	s_cselect_b32 s21, s36, s60                                // 00000000F4D8: 85153C24
	s_mov_b64 exec, s[20:21]                                   // 00000000F4DC: BEFE0114
	global_atomic_add_f32 v6, v148, s[8:9]                     // 00000000F4E0: DD348000 00089406
	global_atomic_add_f32 v6, v152, s[8:9] offset:256          // 00000000F4E8: DD348100 00089806
	s_mov_b64 exec, s[36:37]                                   // 00000000F4F0: BEFE0124
	v_mov_b32_e32 v6, v63                                      // 00000000F4F4: 7E0C033F
	s_mov_b64 s[60:61], 0                                      // 00000000F4F8: BEBC0180
	v_readlane_b32 s82, v3, 10                                 // 00000000F4FC: D2890052 00011503
	s_and_b32 s82, s82, 0xffffff                               // 00000000F504: 8652FF52 00FFFFFF
	s_cmp_lt_u32 s82, s66                                      // 00000000F50C: BF0A4252
	s_cselect_b32 s20, s36, s60                                // 00000000F510: 85143C24
	v_readlane_b32 s82, v3, 11                                 // 00000000F514: D2890052 00011703
	s_and_b32 s82, s82, 0xffffff                               // 00000000F51C: 8652FF52 00FFFFFF
	s_cmp_lt_u32 s82, s66                                      // 00000000F524: BF0A4252
	s_cselect_b32 s21, s36, s60                                // 00000000F528: 85153C24
	s_mov_b64 exec, s[20:21]                                   // 00000000F52C: BEFE0114
	global_atomic_add_f32 v6, v149, s[8:9]                     // 00000000F530: DD348000 00089506
	global_atomic_add_f32 v6, v153, s[8:9] offset:256          // 00000000F538: DD348100 00089906
	s_mov_b64 exec, s[36:37]                                   // 00000000F540: BEFE0124
	v_mov_b32_e32 v6, v64                                      // 00000000F544: 7E0C0340
	s_mov_b64 s[60:61], 0                                      // 00000000F548: BEBC0180
	v_readlane_b32 s82, v3, 12                                 // 00000000F54C: D2890052 00011903
	s_and_b32 s82, s82, 0xffffff                               // 00000000F554: 8652FF52 00FFFFFF
	s_cmp_lt_u32 s82, s66                                      // 00000000F55C: BF0A4252
	s_cselect_b32 s20, s36, s60                                // 00000000F560: 85143C24
	v_readlane_b32 s82, v3, 13                                 // 00000000F564: D2890052 00011B03
	s_and_b32 s82, s82, 0xffffff                               // 00000000F56C: 8652FF52 00FFFFFF
	s_cmp_lt_u32 s82, s66                                      // 00000000F574: BF0A4252
	s_cselect_b32 s21, s36, s60                                // 00000000F578: 85153C24
	s_mov_b64 exec, s[20:21]                                   // 00000000F57C: BEFE0114
	global_atomic_add_f32 v6, v156, s[8:9]                     // 00000000F580: DD348000 00089C06
	global_atomic_add_f32 v6, v160, s[8:9] offset:256          // 00000000F588: DD348100 0008A006
	s_mov_b64 exec, s[36:37]                                   // 00000000F590: BEFE0124
	v_mov_b32_e32 v6, v65                                      // 00000000F594: 7E0C0341
	s_mov_b64 s[60:61], 0                                      // 00000000F598: BEBC0180
	v_readlane_b32 s82, v3, 14                                 // 00000000F59C: D2890052 00011D03
	s_and_b32 s82, s82, 0xffffff                               // 00000000F5A4: 8652FF52 00FFFFFF
	s_cmp_lt_u32 s82, s66                                      // 00000000F5AC: BF0A4252
	s_cselect_b32 s20, s36, s60                                // 00000000F5B0: 85143C24
	v_readlane_b32 s82, v3, 15                                 // 00000000F5B4: D2890052 00011F03
	s_and_b32 s82, s82, 0xffffff                               // 00000000F5BC: 8652FF52 00FFFFFF
	s_cmp_lt_u32 s82, s66                                      // 00000000F5C4: BF0A4252
	s_cselect_b32 s21, s36, s60                                // 00000000F5C8: 85153C24
	s_mov_b64 exec, s[20:21]                                   // 00000000F5CC: BEFE0114
	global_atomic_add_f32 v6, v157, s[8:9]                     // 00000000F5D0: DD348000 00089D06
	global_atomic_add_f32 v6, v161, s[8:9] offset:256          // 00000000F5D8: DD348100 0008A106
	s_mov_b64 exec, s[36:37]                                   // 00000000F5E0: BEFE0124
	v_mov_b32_e32 v6, v66                                      // 00000000F5E4: 7E0C0342
	s_mov_b64 s[60:61], 0                                      // 00000000F5E8: BEBC0180
	v_readlane_b32 s82, v3, 16                                 // 00000000F5EC: D2890052 00012103
	s_and_b32 s82, s82, 0xffffff                               // 00000000F5F4: 8652FF52 00FFFFFF
	s_cmp_lt_u32 s82, s66                                      // 00000000F5FC: BF0A4252
	s_cselect_b32 s20, s36, s60                                // 00000000F600: 85143C24
	v_readlane_b32 s82, v3, 17                                 // 00000000F604: D2890052 00012303
	s_and_b32 s82, s82, 0xffffff                               // 00000000F60C: 8652FF52 00FFFFFF
	s_cmp_lt_u32 s82, s66                                      // 00000000F614: BF0A4252
	s_cselect_b32 s21, s36, s60                                // 00000000F618: 85153C24
	s_mov_b64 exec, s[20:21]                                   // 00000000F61C: BEFE0114
	global_atomic_add_f32 v6, v164, s[8:9]                     // 00000000F620: DD348000 0008A406
	global_atomic_add_f32 v6, v168, s[8:9] offset:256          // 00000000F628: DD348100 0008A806
	s_mov_b64 exec, s[36:37]                                   // 00000000F630: BEFE0124
	v_mov_b32_e32 v6, v67                                      // 00000000F634: 7E0C0343
	s_mov_b64 s[60:61], 0                                      // 00000000F638: BEBC0180
	v_readlane_b32 s82, v3, 18                                 // 00000000F63C: D2890052 00012503
	s_and_b32 s82, s82, 0xffffff                               // 00000000F644: 8652FF52 00FFFFFF
	s_cmp_lt_u32 s82, s66                                      // 00000000F64C: BF0A4252
	s_cselect_b32 s20, s36, s60                                // 00000000F650: 85143C24
	v_readlane_b32 s82, v3, 19                                 // 00000000F654: D2890052 00012703
	s_and_b32 s82, s82, 0xffffff                               // 00000000F65C: 8652FF52 00FFFFFF
	s_cmp_lt_u32 s82, s66                                      // 00000000F664: BF0A4252
	s_cselect_b32 s21, s36, s60                                // 00000000F668: 85153C24
	s_mov_b64 exec, s[20:21]                                   // 00000000F66C: BEFE0114
	global_atomic_add_f32 v6, v165, s[8:9]                     // 00000000F670: DD348000 0008A506
	global_atomic_add_f32 v6, v169, s[8:9] offset:256          // 00000000F678: DD348100 0008A906
	s_mov_b64 exec, s[36:37]                                   // 00000000F680: BEFE0124
	v_mov_b32_e32 v6, v68                                      // 00000000F684: 7E0C0344
	s_mov_b64 s[60:61], 0                                      // 00000000F688: BEBC0180
	v_readlane_b32 s82, v3, 20                                 // 00000000F68C: D2890052 00012903
	s_and_b32 s82, s82, 0xffffff                               // 00000000F694: 8652FF52 00FFFFFF
	s_cmp_lt_u32 s82, s66                                      // 00000000F69C: BF0A4252
	s_cselect_b32 s20, s36, s60                                // 00000000F6A0: 85143C24
	v_readlane_b32 s82, v3, 21                                 // 00000000F6A4: D2890052 00012B03
	s_and_b32 s82, s82, 0xffffff                               // 00000000F6AC: 8652FF52 00FFFFFF
	s_cmp_lt_u32 s82, s66                                      // 00000000F6B4: BF0A4252
	s_cselect_b32 s21, s36, s60                                // 00000000F6B8: 85153C24
	s_mov_b64 exec, s[20:21]                                   // 00000000F6BC: BEFE0114
	global_atomic_add_f32 v6, v172, s[8:9]                     // 00000000F6C0: DD348000 0008AC06
	global_atomic_add_f32 v6, v176, s[8:9] offset:256          // 00000000F6C8: DD348100 0008B006
	s_mov_b64 exec, s[36:37]                                   // 00000000F6D0: BEFE0124
	v_mov_b32_e32 v6, v69                                      // 00000000F6D4: 7E0C0345
	s_mov_b64 s[60:61], 0                                      // 00000000F6D8: BEBC0180
	v_readlane_b32 s82, v3, 22                                 // 00000000F6DC: D2890052 00012D03
	s_and_b32 s82, s82, 0xffffff                               // 00000000F6E4: 8652FF52 00FFFFFF
	s_cmp_lt_u32 s82, s66                                      // 00000000F6EC: BF0A4252
	s_cselect_b32 s20, s36, s60                                // 00000000F6F0: 85143C24
	v_readlane_b32 s82, v3, 23                                 // 00000000F6F4: D2890052 00012F03
	s_and_b32 s82, s82, 0xffffff                               // 00000000F6FC: 8652FF52 00FFFFFF
	s_cmp_lt_u32 s82, s66                                      // 00000000F704: BF0A4252
	s_cselect_b32 s21, s36, s60                                // 00000000F708: 85153C24
	s_mov_b64 exec, s[20:21]                                   // 00000000F70C: BEFE0114
	global_atomic_add_f32 v6, v173, s[8:9]                     // 00000000F710: DD348000 0008AD06
	global_atomic_add_f32 v6, v177, s[8:9] offset:256          // 00000000F718: DD348100 0008B106
	s_mov_b64 exec, s[36:37]                                   // 00000000F720: BEFE0124
	v_mov_b32_e32 v6, v70                                      // 00000000F724: 7E0C0346
	s_mov_b64 s[60:61], 0                                      // 00000000F728: BEBC0180
	v_readlane_b32 s82, v3, 24                                 // 00000000F72C: D2890052 00013103
	s_and_b32 s82, s82, 0xffffff                               // 00000000F734: 8652FF52 00FFFFFF
	s_cmp_lt_u32 s82, s66                                      // 00000000F73C: BF0A4252
	s_cselect_b32 s20, s36, s60                                // 00000000F740: 85143C24
	v_readlane_b32 s82, v3, 25                                 // 00000000F744: D2890052 00013303
	s_and_b32 s82, s82, 0xffffff                               // 00000000F74C: 8652FF52 00FFFFFF
	s_cmp_lt_u32 s82, s66                                      // 00000000F754: BF0A4252
	s_cselect_b32 s21, s36, s60                                // 00000000F758: 85153C24
	s_mov_b64 exec, s[20:21]                                   // 00000000F75C: BEFE0114
	global_atomic_add_f32 v6, v180, s[8:9]                     // 00000000F760: DD348000 0008B406
	global_atomic_add_f32 v6, v184, s[8:9] offset:256          // 00000000F768: DD348100 0008B806
	s_mov_b64 exec, s[36:37]                                   // 00000000F770: BEFE0124
	v_mov_b32_e32 v6, v71                                      // 00000000F774: 7E0C0347
	s_mov_b64 s[60:61], 0                                      // 00000000F778: BEBC0180
	v_readlane_b32 s82, v3, 26                                 // 00000000F77C: D2890052 00013503
	s_and_b32 s82, s82, 0xffffff                               // 00000000F784: 8652FF52 00FFFFFF
	s_cmp_lt_u32 s82, s66                                      // 00000000F78C: BF0A4252
	s_cselect_b32 s20, s36, s60                                // 00000000F790: 85143C24
	v_readlane_b32 s82, v3, 27                                 // 00000000F794: D2890052 00013703
	s_and_b32 s82, s82, 0xffffff                               // 00000000F79C: 8652FF52 00FFFFFF
	s_cmp_lt_u32 s82, s66                                      // 00000000F7A4: BF0A4252
	s_cselect_b32 s21, s36, s60                                // 00000000F7A8: 85153C24
	s_mov_b64 exec, s[20:21]                                   // 00000000F7AC: BEFE0114
	global_atomic_add_f32 v6, v181, s[8:9]                     // 00000000F7B0: DD348000 0008B506
	global_atomic_add_f32 v6, v185, s[8:9] offset:256          // 00000000F7B8: DD348100 0008B906
	s_mov_b64 exec, s[36:37]                                   // 00000000F7C0: BEFE0124
	ds_write_b64 v20, v[134:135]                               // 00000000F7C4: D89A0000 00008614
	ds_write_b64 v20, v[138:139] offset:4352                   // 00000000F7CC: D89A1100 00008A14
	ds_write_b64 v20, v[142:143] offset:8704                   // 00000000F7D4: D89A2200 00008E14
	ds_write_b64 v20, v[146:147] offset:13056                  // 00000000F7DC: D89A3300 00009214
	ds_write_b64 v20, v[150:151] offset:17408                  // 00000000F7E4: D89A4400 00009614
	ds_write_b64 v20, v[154:155] offset:21760                  // 00000000F7EC: D89A5500 00009A14
	ds_write_b64 v20, v[158:159] offset:26112                  // 00000000F7F4: D89A6600 00009E14
	ds_write_b64 v20, v[162:163] offset:2176                   // 00000000F7FC: D89A0880 0000A214
	ds_write_b64 v20, v[166:167] offset:6528                   // 00000000F804: D89A1980 0000A614
	ds_write_b64 v20, v[170:171] offset:10880                  // 00000000F80C: D89A2A80 0000AA14
	ds_write_b64 v20, v[174:175] offset:15232                  // 00000000F814: D89A3B80 0000AE14
	ds_write_b64 v20, v[178:179] offset:19584                  // 00000000F81C: D89A4C80 0000B214
	ds_write_b64 v20, v[182:183] offset:23936                  // 00000000F824: D89A5D80 0000B614
	ds_write_b64 v20, v[186:187] offset:28288                  // 00000000F82C: D89A6E80 0000BA14
	s_waitcnt lgkmcnt(0)                                       // 00000000F834: BF8CC07F
	s_barrier                                                  // 00000000F838: BF8A0000
	ds_read_b32 v134, v21                                      // 00000000F83C: D86C0000 86000015
	ds_read_b32 v135, v21 offset:64                            // 00000000F844: D86C0040 87000015
	ds_read_b32 v138, v21 offset:2176                          // 00000000F84C: D86C0880 8A000015
	ds_read_b32 v139, v21 offset:2240                          // 00000000F854: D86C08C0 8B000015
	ds_read_b32 v142, v21 offset:4352                          // 00000000F85C: D86C1100 8E000015
	ds_read_b32 v143, v21 offset:4416                          // 00000000F864: D86C1140 8F000015
	ds_read_b32 v146, v21 offset:6528                          // 00000000F86C: D86C1980 92000015
	ds_read_b32 v147, v21 offset:6592                          // 00000000F874: D86C19C0 93000015
	ds_read_b32 v150, v21 offset:8704                          // 00000000F87C: D86C2200 96000015
	ds_read_b32 v151, v21 offset:8768                          // 00000000F884: D86C2240 97000015
	ds_read_b32 v154, v21 offset:10880                         // 00000000F88C: D86C2A80 9A000015
	ds_read_b32 v155, v21 offset:10944                         // 00000000F894: D86C2AC0 9B000015
	ds_read_b32 v158, v21 offset:13056                         // 00000000F89C: D86C3300 9E000015
	ds_read_b32 v159, v21 offset:13120                         // 00000000F8A4: D86C3340 9F000015
	ds_read_b32 v162, v21 offset:15232                         // 00000000F8AC: D86C3B80 A2000015
	ds_read_b32 v163, v21 offset:15296                         // 00000000F8B4: D86C3BC0 A3000015
	ds_read_b32 v166, v21 offset:17408                         // 00000000F8BC: D86C4400 A6000015
	ds_read_b32 v167, v21 offset:17472                         // 00000000F8C4: D86C4440 A7000015
	ds_read_b32 v170, v21 offset:19584                         // 00000000F8CC: D86C4C80 AA000015
	ds_read_b32 v171, v21 offset:19648                         // 00000000F8D4: D86C4CC0 AB000015
	ds_read_b32 v174, v21 offset:21760                         // 00000000F8DC: D86C5500 AE000015
	ds_read_b32 v175, v21 offset:21824                         // 00000000F8E4: D86C5540 AF000015
	ds_read_b32 v178, v21 offset:23936                         // 00000000F8EC: D86C5D80 B2000015
	ds_read_b32 v179, v21 offset:24000                         // 00000000F8F4: D86C5DC0 B3000015
	ds_read_b32 v182, v21 offset:26112                         // 00000000F8FC: D86C6600 B6000015
	ds_read_b32 v183, v21 offset:26176                         // 00000000F904: D86C6640 B7000015
	ds_read_b32 v186, v21 offset:28288                         // 00000000F90C: D86C6E80 BA000015
	ds_read_b32 v187, v21 offset:28352                         // 00000000F914: D86C6EC0 BB000015
	s_waitcnt lgkmcnt(0)                                       // 00000000F91C: BF8CC07F
	v_mov_b32_e32 v7, 0                                        // 00000000F920: 7E0E0280
	s_mov_b64 exec, s[36:37]                                   // 00000000F924: BEFE0124
	v_mov_b32_e32 v6, v58                                      // 00000000F928: 7E0C033A
	s_mov_b64 s[60:61], 0                                      // 00000000F92C: BEBC0180
	v_readlane_b32 s82, v3, 0                                  // 00000000F930: D2890052 00010103
	s_and_b32 s82, s82, 0xffffff                               // 00000000F938: 8652FF52 00FFFFFF
	s_cmp_lt_u32 s82, s66                                      // 00000000F940: BF0A4252
	s_cselect_b32 s20, s36, s60                                // 00000000F944: 85143C24
	v_readlane_b32 s82, v3, 1                                  // 00000000F948: D2890052 00010303
	s_and_b32 s82, s82, 0xffffff                               // 00000000F950: 8652FF52 00FFFFFF
	s_cmp_lt_u32 s82, s66                                      // 00000000F958: BF0A4252
	s_cselect_b32 s21, s36, s60                                // 00000000F95C: 85153C24
	s_mov_b64 exec, s[20:21]                                   // 00000000F960: BEFE0114
	global_atomic_add_f32 v6, v134, s[8:9] offset:8            // 00000000F964: DD348008 00088606
	global_atomic_add_f32 v6, v138, s[8:9] offset:264          // 00000000F96C: DD348108 00088A06
	s_mov_b64 exec, s[36:37]                                   // 00000000F974: BEFE0124
	v_mov_b32_e32 v6, v59                                      // 00000000F978: 7E0C033B
	s_mov_b64 s[60:61], 0                                      // 00000000F97C: BEBC0180
	v_readlane_b32 s82, v3, 2                                  // 00000000F980: D2890052 00010503
	s_and_b32 s82, s82, 0xffffff                               // 00000000F988: 8652FF52 00FFFFFF
	s_cmp_lt_u32 s82, s66                                      // 00000000F990: BF0A4252
	s_cselect_b32 s20, s36, s60                                // 00000000F994: 85143C24
	v_readlane_b32 s82, v3, 3                                  // 00000000F998: D2890052 00010703
	s_and_b32 s82, s82, 0xffffff                               // 00000000F9A0: 8652FF52 00FFFFFF
	s_cmp_lt_u32 s82, s66                                      // 00000000F9A8: BF0A4252
	s_cselect_b32 s21, s36, s60                                // 00000000F9AC: 85153C24
	s_mov_b64 exec, s[20:21]                                   // 00000000F9B0: BEFE0114
	global_atomic_add_f32 v6, v135, s[8:9] offset:8            // 00000000F9B4: DD348008 00088706
	global_atomic_add_f32 v6, v139, s[8:9] offset:264          // 00000000F9BC: DD348108 00088B06
	s_mov_b64 exec, s[36:37]                                   // 00000000F9C4: BEFE0124
	v_mov_b32_e32 v6, v60                                      // 00000000F9C8: 7E0C033C
	s_mov_b64 s[60:61], 0                                      // 00000000F9CC: BEBC0180
	v_readlane_b32 s82, v3, 4                                  // 00000000F9D0: D2890052 00010903
	s_and_b32 s82, s82, 0xffffff                               // 00000000F9D8: 8652FF52 00FFFFFF
	s_cmp_lt_u32 s82, s66                                      // 00000000F9E0: BF0A4252
	s_cselect_b32 s20, s36, s60                                // 00000000F9E4: 85143C24
	v_readlane_b32 s82, v3, 5                                  // 00000000F9E8: D2890052 00010B03
	s_and_b32 s82, s82, 0xffffff                               // 00000000F9F0: 8652FF52 00FFFFFF
	s_cmp_lt_u32 s82, s66                                      // 00000000F9F8: BF0A4252
	s_cselect_b32 s21, s36, s60                                // 00000000F9FC: 85153C24
	s_mov_b64 exec, s[20:21]                                   // 00000000FA00: BEFE0114
	global_atomic_add_f32 v6, v142, s[8:9] offset:8            // 00000000FA04: DD348008 00088E06
	global_atomic_add_f32 v6, v146, s[8:9] offset:264          // 00000000FA0C: DD348108 00089206
	s_mov_b64 exec, s[36:37]                                   // 00000000FA14: BEFE0124
	v_mov_b32_e32 v6, v61                                      // 00000000FA18: 7E0C033D
	s_mov_b64 s[60:61], 0                                      // 00000000FA1C: BEBC0180
	v_readlane_b32 s82, v3, 6                                  // 00000000FA20: D2890052 00010D03
	s_and_b32 s82, s82, 0xffffff                               // 00000000FA28: 8652FF52 00FFFFFF
	s_cmp_lt_u32 s82, s66                                      // 00000000FA30: BF0A4252
	s_cselect_b32 s20, s36, s60                                // 00000000FA34: 85143C24
	v_readlane_b32 s82, v3, 7                                  // 00000000FA38: D2890052 00010F03
	s_and_b32 s82, s82, 0xffffff                               // 00000000FA40: 8652FF52 00FFFFFF
	s_cmp_lt_u32 s82, s66                                      // 00000000FA48: BF0A4252
	s_cselect_b32 s21, s36, s60                                // 00000000FA4C: 85153C24
	s_mov_b64 exec, s[20:21]                                   // 00000000FA50: BEFE0114
	global_atomic_add_f32 v6, v143, s[8:9] offset:8            // 00000000FA54: DD348008 00088F06
	global_atomic_add_f32 v6, v147, s[8:9] offset:264          // 00000000FA5C: DD348108 00089306
	s_mov_b64 exec, s[36:37]                                   // 00000000FA64: BEFE0124
	v_mov_b32_e32 v6, v62                                      // 00000000FA68: 7E0C033E
	s_mov_b64 s[60:61], 0                                      // 00000000FA6C: BEBC0180
	v_readlane_b32 s82, v3, 8                                  // 00000000FA70: D2890052 00011103
	s_and_b32 s82, s82, 0xffffff                               // 00000000FA78: 8652FF52 00FFFFFF
	s_cmp_lt_u32 s82, s66                                      // 00000000FA80: BF0A4252
	s_cselect_b32 s20, s36, s60                                // 00000000FA84: 85143C24
	v_readlane_b32 s82, v3, 9                                  // 00000000FA88: D2890052 00011303
	s_and_b32 s82, s82, 0xffffff                               // 00000000FA90: 8652FF52 00FFFFFF
	s_cmp_lt_u32 s82, s66                                      // 00000000FA98: BF0A4252
	s_cselect_b32 s21, s36, s60                                // 00000000FA9C: 85153C24
	s_mov_b64 exec, s[20:21]                                   // 00000000FAA0: BEFE0114
	global_atomic_add_f32 v6, v150, s[8:9] offset:8            // 00000000FAA4: DD348008 00089606
	global_atomic_add_f32 v6, v154, s[8:9] offset:264          // 00000000FAAC: DD348108 00089A06
	s_mov_b64 exec, s[36:37]                                   // 00000000FAB4: BEFE0124
	v_mov_b32_e32 v6, v63                                      // 00000000FAB8: 7E0C033F
	s_mov_b64 s[60:61], 0                                      // 00000000FABC: BEBC0180
	v_readlane_b32 s82, v3, 10                                 // 00000000FAC0: D2890052 00011503
	s_and_b32 s82, s82, 0xffffff                               // 00000000FAC8: 8652FF52 00FFFFFF
	s_cmp_lt_u32 s82, s66                                      // 00000000FAD0: BF0A4252
	s_cselect_b32 s20, s36, s60                                // 00000000FAD4: 85143C24
	v_readlane_b32 s82, v3, 11                                 // 00000000FAD8: D2890052 00011703
	s_and_b32 s82, s82, 0xffffff                               // 00000000FAE0: 8652FF52 00FFFFFF
	s_cmp_lt_u32 s82, s66                                      // 00000000FAE8: BF0A4252
	s_cselect_b32 s21, s36, s60                                // 00000000FAEC: 85153C24
	s_mov_b64 exec, s[20:21]                                   // 00000000FAF0: BEFE0114
	global_atomic_add_f32 v6, v151, s[8:9] offset:8            // 00000000FAF4: DD348008 00089706
	global_atomic_add_f32 v6, v155, s[8:9] offset:264          // 00000000FAFC: DD348108 00089B06
	s_mov_b64 exec, s[36:37]                                   // 00000000FB04: BEFE0124
	v_mov_b32_e32 v6, v64                                      // 00000000FB08: 7E0C0340
	s_mov_b64 s[60:61], 0                                      // 00000000FB0C: BEBC0180
	v_readlane_b32 s82, v3, 12                                 // 00000000FB10: D2890052 00011903
	s_and_b32 s82, s82, 0xffffff                               // 00000000FB18: 8652FF52 00FFFFFF
	s_cmp_lt_u32 s82, s66                                      // 00000000FB20: BF0A4252
	s_cselect_b32 s20, s36, s60                                // 00000000FB24: 85143C24
	v_readlane_b32 s82, v3, 13                                 // 00000000FB28: D2890052 00011B03
	s_and_b32 s82, s82, 0xffffff                               // 00000000FB30: 8652FF52 00FFFFFF
	s_cmp_lt_u32 s82, s66                                      // 00000000FB38: BF0A4252
	s_cselect_b32 s21, s36, s60                                // 00000000FB3C: 85153C24
	s_mov_b64 exec, s[20:21]                                   // 00000000FB40: BEFE0114
	global_atomic_add_f32 v6, v158, s[8:9] offset:8            // 00000000FB44: DD348008 00089E06
	global_atomic_add_f32 v6, v162, s[8:9] offset:264          // 00000000FB4C: DD348108 0008A206
	s_mov_b64 exec, s[36:37]                                   // 00000000FB54: BEFE0124
	v_mov_b32_e32 v6, v65                                      // 00000000FB58: 7E0C0341
	s_mov_b64 s[60:61], 0                                      // 00000000FB5C: BEBC0180
	v_readlane_b32 s82, v3, 14                                 // 00000000FB60: D2890052 00011D03
	s_and_b32 s82, s82, 0xffffff                               // 00000000FB68: 8652FF52 00FFFFFF
	s_cmp_lt_u32 s82, s66                                      // 00000000FB70: BF0A4252
	s_cselect_b32 s20, s36, s60                                // 00000000FB74: 85143C24
	v_readlane_b32 s82, v3, 15                                 // 00000000FB78: D2890052 00011F03
	s_and_b32 s82, s82, 0xffffff                               // 00000000FB80: 8652FF52 00FFFFFF
	s_cmp_lt_u32 s82, s66                                      // 00000000FB88: BF0A4252
	s_cselect_b32 s21, s36, s60                                // 00000000FB8C: 85153C24
	s_mov_b64 exec, s[20:21]                                   // 00000000FB90: BEFE0114
	global_atomic_add_f32 v6, v159, s[8:9] offset:8            // 00000000FB94: DD348008 00089F06
	global_atomic_add_f32 v6, v163, s[8:9] offset:264          // 00000000FB9C: DD348108 0008A306
	s_mov_b64 exec, s[36:37]                                   // 00000000FBA4: BEFE0124
	v_mov_b32_e32 v6, v66                                      // 00000000FBA8: 7E0C0342
	s_mov_b64 s[60:61], 0                                      // 00000000FBAC: BEBC0180
	v_readlane_b32 s82, v3, 16                                 // 00000000FBB0: D2890052 00012103
	s_and_b32 s82, s82, 0xffffff                               // 00000000FBB8: 8652FF52 00FFFFFF
	s_cmp_lt_u32 s82, s66                                      // 00000000FBC0: BF0A4252
	s_cselect_b32 s20, s36, s60                                // 00000000FBC4: 85143C24
	v_readlane_b32 s82, v3, 17                                 // 00000000FBC8: D2890052 00012303
	s_and_b32 s82, s82, 0xffffff                               // 00000000FBD0: 8652FF52 00FFFFFF
	s_cmp_lt_u32 s82, s66                                      // 00000000FBD8: BF0A4252
	s_cselect_b32 s21, s36, s60                                // 00000000FBDC: 85153C24
	s_mov_b64 exec, s[20:21]                                   // 00000000FBE0: BEFE0114
	global_atomic_add_f32 v6, v166, s[8:9] offset:8            // 00000000FBE4: DD348008 0008A606
	global_atomic_add_f32 v6, v170, s[8:9] offset:264          // 00000000FBEC: DD348108 0008AA06
	s_mov_b64 exec, s[36:37]                                   // 00000000FBF4: BEFE0124
	v_mov_b32_e32 v6, v67                                      // 00000000FBF8: 7E0C0343
	s_mov_b64 s[60:61], 0                                      // 00000000FBFC: BEBC0180
	v_readlane_b32 s82, v3, 18                                 // 00000000FC00: D2890052 00012503
	s_and_b32 s82, s82, 0xffffff                               // 00000000FC08: 8652FF52 00FFFFFF
	s_cmp_lt_u32 s82, s66                                      // 00000000FC10: BF0A4252
	s_cselect_b32 s20, s36, s60                                // 00000000FC14: 85143C24
	v_readlane_b32 s82, v3, 19                                 // 00000000FC18: D2890052 00012703
	s_and_b32 s82, s82, 0xffffff                               // 00000000FC20: 8652FF52 00FFFFFF
	s_cmp_lt_u32 s82, s66                                      // 00000000FC28: BF0A4252
	s_cselect_b32 s21, s36, s60                                // 00000000FC2C: 85153C24
	s_mov_b64 exec, s[20:21]                                   // 00000000FC30: BEFE0114
	global_atomic_add_f32 v6, v167, s[8:9] offset:8            // 00000000FC34: DD348008 0008A706
	global_atomic_add_f32 v6, v171, s[8:9] offset:264          // 00000000FC3C: DD348108 0008AB06
	s_mov_b64 exec, s[36:37]                                   // 00000000FC44: BEFE0124
	v_mov_b32_e32 v6, v68                                      // 00000000FC48: 7E0C0344
	s_mov_b64 s[60:61], 0                                      // 00000000FC4C: BEBC0180
	v_readlane_b32 s82, v3, 20                                 // 00000000FC50: D2890052 00012903
	s_and_b32 s82, s82, 0xffffff                               // 00000000FC58: 8652FF52 00FFFFFF
	s_cmp_lt_u32 s82, s66                                      // 00000000FC60: BF0A4252
	s_cselect_b32 s20, s36, s60                                // 00000000FC64: 85143C24
	v_readlane_b32 s82, v3, 21                                 // 00000000FC68: D2890052 00012B03
	s_and_b32 s82, s82, 0xffffff                               // 00000000FC70: 8652FF52 00FFFFFF
	s_cmp_lt_u32 s82, s66                                      // 00000000FC78: BF0A4252
	s_cselect_b32 s21, s36, s60                                // 00000000FC7C: 85153C24
	s_mov_b64 exec, s[20:21]                                   // 00000000FC80: BEFE0114
	global_atomic_add_f32 v6, v174, s[8:9] offset:8            // 00000000FC84: DD348008 0008AE06
	global_atomic_add_f32 v6, v178, s[8:9] offset:264          // 00000000FC8C: DD348108 0008B206
	s_mov_b64 exec, s[36:37]                                   // 00000000FC94: BEFE0124
	v_mov_b32_e32 v6, v69                                      // 00000000FC98: 7E0C0345
	s_mov_b64 s[60:61], 0                                      // 00000000FC9C: BEBC0180
	v_readlane_b32 s82, v3, 22                                 // 00000000FCA0: D2890052 00012D03
	s_and_b32 s82, s82, 0xffffff                               // 00000000FCA8: 8652FF52 00FFFFFF
	s_cmp_lt_u32 s82, s66                                      // 00000000FCB0: BF0A4252
	s_cselect_b32 s20, s36, s60                                // 00000000FCB4: 85143C24
	v_readlane_b32 s82, v3, 23                                 // 00000000FCB8: D2890052 00012F03
	s_and_b32 s82, s82, 0xffffff                               // 00000000FCC0: 8652FF52 00FFFFFF
	s_cmp_lt_u32 s82, s66                                      // 00000000FCC8: BF0A4252
	s_cselect_b32 s21, s36, s60                                // 00000000FCCC: 85153C24
	s_mov_b64 exec, s[20:21]                                   // 00000000FCD0: BEFE0114
	global_atomic_add_f32 v6, v175, s[8:9] offset:8            // 00000000FCD4: DD348008 0008AF06
	global_atomic_add_f32 v6, v179, s[8:9] offset:264          // 00000000FCDC: DD348108 0008B306
	s_mov_b64 exec, s[36:37]                                   // 00000000FCE4: BEFE0124
	v_mov_b32_e32 v6, v70                                      // 00000000FCE8: 7E0C0346
	s_mov_b64 s[60:61], 0                                      // 00000000FCEC: BEBC0180
	v_readlane_b32 s82, v3, 24                                 // 00000000FCF0: D2890052 00013103
	s_and_b32 s82, s82, 0xffffff                               // 00000000FCF8: 8652FF52 00FFFFFF
	s_cmp_lt_u32 s82, s66                                      // 00000000FD00: BF0A4252
	s_cselect_b32 s20, s36, s60                                // 00000000FD04: 85143C24
	v_readlane_b32 s82, v3, 25                                 // 00000000FD08: D2890052 00013303
	s_and_b32 s82, s82, 0xffffff                               // 00000000FD10: 8652FF52 00FFFFFF
	s_cmp_lt_u32 s82, s66                                      // 00000000FD18: BF0A4252
	s_cselect_b32 s21, s36, s60                                // 00000000FD1C: 85153C24
	s_mov_b64 exec, s[20:21]                                   // 00000000FD20: BEFE0114
	global_atomic_add_f32 v6, v182, s[8:9] offset:8            // 00000000FD24: DD348008 0008B606
	global_atomic_add_f32 v6, v186, s[8:9] offset:264          // 00000000FD2C: DD348108 0008BA06
	s_mov_b64 exec, s[36:37]                                   // 00000000FD34: BEFE0124
	v_mov_b32_e32 v6, v71                                      // 00000000FD38: 7E0C0347
	s_mov_b64 s[60:61], 0                                      // 00000000FD3C: BEBC0180
	v_readlane_b32 s82, v3, 26                                 // 00000000FD40: D2890052 00013503
	s_and_b32 s82, s82, 0xffffff                               // 00000000FD48: 8652FF52 00FFFFFF
	s_cmp_lt_u32 s82, s66                                      // 00000000FD50: BF0A4252
	s_cselect_b32 s20, s36, s60                                // 00000000FD54: 85143C24
	v_readlane_b32 s82, v3, 27                                 // 00000000FD58: D2890052 00013703
	s_and_b32 s82, s82, 0xffffff                               // 00000000FD60: 8652FF52 00FFFFFF
	s_cmp_lt_u32 s82, s66                                      // 00000000FD68: BF0A4252
	s_cselect_b32 s21, s36, s60                                // 00000000FD6C: 85153C24
	s_mov_b64 exec, s[20:21]                                   // 00000000FD70: BEFE0114
	global_atomic_add_f32 v6, v183, s[8:9] offset:8            // 00000000FD74: DD348008 0008B706
	global_atomic_add_f32 v6, v187, s[8:9] offset:264          // 00000000FD7C: DD348108 0008BB06
	s_mov_b64 exec, s[36:37]                                   // 00000000FD84: BEFE0124
	s_branch label_34E6                                        // 00000000FD88: BF820000

000000000000fd8c <label_34E6>:
	s_waitcnt vmcnt(0) expcnt(0) lgkmcnt(0)                    // 00000000FD8C: BF8C0000
	s_endpgm                                                   // 00000000FD90: BF810000
